;; amdgpu-corpus repo=ROCm/rocFFT kind=compiled arch=gfx1201 opt=O3
	.text
	.amdgcn_target "amdgcn-amd-amdhsa--gfx1201"
	.amdhsa_code_object_version 6
	.protected	fft_rtc_back_len1078_factors_2_11_7_7_wgs_231_tpt_77_halfLds_dp_op_CI_CI_unitstride_sbrr_R2C_dirReg ; -- Begin function fft_rtc_back_len1078_factors_2_11_7_7_wgs_231_tpt_77_halfLds_dp_op_CI_CI_unitstride_sbrr_R2C_dirReg
	.globl	fft_rtc_back_len1078_factors_2_11_7_7_wgs_231_tpt_77_halfLds_dp_op_CI_CI_unitstride_sbrr_R2C_dirReg
	.p2align	8
	.type	fft_rtc_back_len1078_factors_2_11_7_7_wgs_231_tpt_77_halfLds_dp_op_CI_CI_unitstride_sbrr_R2C_dirReg,@function
fft_rtc_back_len1078_factors_2_11_7_7_wgs_231_tpt_77_halfLds_dp_op_CI_CI_unitstride_sbrr_R2C_dirReg: ; @fft_rtc_back_len1078_factors_2_11_7_7_wgs_231_tpt_77_halfLds_dp_op_CI_CI_unitstride_sbrr_R2C_dirReg
; %bb.0:
	s_load_b128 s[8:11], s[0:1], 0x0
	v_mul_u32_u24_e32 v1, 0x354, v0
	s_clause 0x1
	s_load_b128 s[4:7], s[0:1], 0x58
	s_load_b128 s[12:15], s[0:1], 0x18
	v_mov_b32_e32 v5, 0
	v_lshrrev_b32_e32 v3, 16, v1
	v_mov_b32_e32 v1, 0
	v_mov_b32_e32 v2, 0
	s_delay_alu instid0(VALU_DEP_3) | instskip(NEXT) | instid1(VALU_DEP_2)
	v_mad_co_u64_u32 v[3:4], null, ttmp9, 3, v[3:4]
	v_dual_mov_b32 v4, v5 :: v_dual_mov_b32 v89, v2
	s_delay_alu instid0(VALU_DEP_1) | instskip(NEXT) | instid1(VALU_DEP_3)
	v_dual_mov_b32 v88, v1 :: v_dual_mov_b32 v95, v4
	v_mov_b32_e32 v94, v3
	s_wait_kmcnt 0x0
	v_cmp_lt_u64_e64 s2, s[10:11], 2
	s_delay_alu instid0(VALU_DEP_1)
	s_and_b32 vcc_lo, exec_lo, s2
	s_cbranch_vccnz .LBB0_8
; %bb.1:
	s_load_b64 s[2:3], s[0:1], 0x10
	v_dual_mov_b32 v1, 0 :: v_dual_mov_b32 v8, v4
	v_dual_mov_b32 v2, 0 :: v_dual_mov_b32 v7, v3
	s_add_nc_u64 s[16:17], s[14:15], 8
	s_add_nc_u64 s[18:19], s[12:13], 8
	s_mov_b64 s[20:21], 1
	s_delay_alu instid0(VALU_DEP_1)
	v_dual_mov_b32 v89, v2 :: v_dual_mov_b32 v88, v1
	s_wait_kmcnt 0x0
	s_add_nc_u64 s[22:23], s[2:3], 8
	s_mov_b32 s3, 0
.LBB0_2:                                ; =>This Inner Loop Header: Depth=1
	s_load_b64 s[24:25], s[22:23], 0x0
                                        ; implicit-def: $vgpr94_vgpr95
	s_mov_b32 s2, exec_lo
	s_wait_kmcnt 0x0
	v_or_b32_e32 v6, s25, v8
	s_delay_alu instid0(VALU_DEP_1)
	v_cmpx_ne_u64_e32 0, v[5:6]
	s_wait_alu 0xfffe
	s_xor_b32 s26, exec_lo, s2
	s_cbranch_execz .LBB0_4
; %bb.3:                                ;   in Loop: Header=BB0_2 Depth=1
	s_cvt_f32_u32 s2, s24
	s_cvt_f32_u32 s27, s25
	s_sub_nc_u64 s[30:31], 0, s[24:25]
	s_wait_alu 0xfffe
	s_delay_alu instid0(SALU_CYCLE_1) | instskip(SKIP_1) | instid1(SALU_CYCLE_2)
	s_fmamk_f32 s2, s27, 0x4f800000, s2
	s_wait_alu 0xfffe
	v_s_rcp_f32 s2, s2
	s_delay_alu instid0(TRANS32_DEP_1) | instskip(SKIP_1) | instid1(SALU_CYCLE_2)
	s_mul_f32 s2, s2, 0x5f7ffffc
	s_wait_alu 0xfffe
	s_mul_f32 s27, s2, 0x2f800000
	s_wait_alu 0xfffe
	s_delay_alu instid0(SALU_CYCLE_2) | instskip(SKIP_1) | instid1(SALU_CYCLE_2)
	s_trunc_f32 s27, s27
	s_wait_alu 0xfffe
	s_fmamk_f32 s2, s27, 0xcf800000, s2
	s_cvt_u32_f32 s29, s27
	s_wait_alu 0xfffe
	s_delay_alu instid0(SALU_CYCLE_1) | instskip(SKIP_1) | instid1(SALU_CYCLE_2)
	s_cvt_u32_f32 s28, s2
	s_wait_alu 0xfffe
	s_mul_u64 s[34:35], s[30:31], s[28:29]
	s_wait_alu 0xfffe
	s_mul_hi_u32 s37, s28, s35
	s_mul_i32 s36, s28, s35
	s_mul_hi_u32 s2, s28, s34
	s_mul_i32 s33, s29, s34
	s_wait_alu 0xfffe
	s_add_nc_u64 s[36:37], s[2:3], s[36:37]
	s_mul_hi_u32 s27, s29, s34
	s_mul_hi_u32 s38, s29, s35
	s_add_co_u32 s2, s36, s33
	s_wait_alu 0xfffe
	s_add_co_ci_u32 s2, s37, s27
	s_mul_i32 s34, s29, s35
	s_add_co_ci_u32 s35, s38, 0
	s_wait_alu 0xfffe
	s_add_nc_u64 s[34:35], s[2:3], s[34:35]
	s_wait_alu 0xfffe
	v_add_co_u32 v4, s2, s28, s34
	s_delay_alu instid0(VALU_DEP_1) | instskip(SKIP_1) | instid1(VALU_DEP_1)
	s_cmp_lg_u32 s2, 0
	s_add_co_ci_u32 s29, s29, s35
	v_readfirstlane_b32 s28, v4
	s_wait_alu 0xfffe
	s_delay_alu instid0(VALU_DEP_1)
	s_mul_u64 s[30:31], s[30:31], s[28:29]
	s_wait_alu 0xfffe
	s_mul_hi_u32 s35, s28, s31
	s_mul_i32 s34, s28, s31
	s_mul_hi_u32 s2, s28, s30
	s_mul_i32 s33, s29, s30
	s_wait_alu 0xfffe
	s_add_nc_u64 s[34:35], s[2:3], s[34:35]
	s_mul_hi_u32 s27, s29, s30
	s_mul_hi_u32 s28, s29, s31
	s_wait_alu 0xfffe
	s_add_co_u32 s2, s34, s33
	s_add_co_ci_u32 s2, s35, s27
	s_mul_i32 s30, s29, s31
	s_add_co_ci_u32 s31, s28, 0
	s_wait_alu 0xfffe
	s_add_nc_u64 s[30:31], s[2:3], s[30:31]
	s_wait_alu 0xfffe
	v_add_co_u32 v4, s2, v4, s30
	s_delay_alu instid0(VALU_DEP_1) | instskip(SKIP_1) | instid1(VALU_DEP_1)
	s_cmp_lg_u32 s2, 0
	s_add_co_ci_u32 s2, s29, s31
	v_mul_hi_u32 v6, v7, v4
	s_wait_alu 0xfffe
	v_mad_co_u64_u32 v[9:10], null, v7, s2, 0
	v_mad_co_u64_u32 v[11:12], null, v8, v4, 0
	;; [unrolled: 1-line block ×3, first 2 shown]
	s_delay_alu instid0(VALU_DEP_3) | instskip(SKIP_1) | instid1(VALU_DEP_4)
	v_add_co_u32 v4, vcc_lo, v6, v9
	s_wait_alu 0xfffd
	v_add_co_ci_u32_e32 v6, vcc_lo, 0, v10, vcc_lo
	s_delay_alu instid0(VALU_DEP_2) | instskip(SKIP_1) | instid1(VALU_DEP_2)
	v_add_co_u32 v4, vcc_lo, v4, v11
	s_wait_alu 0xfffd
	v_add_co_ci_u32_e32 v4, vcc_lo, v6, v12, vcc_lo
	s_wait_alu 0xfffd
	v_add_co_ci_u32_e32 v6, vcc_lo, 0, v14, vcc_lo
	s_delay_alu instid0(VALU_DEP_2) | instskip(SKIP_1) | instid1(VALU_DEP_2)
	v_add_co_u32 v4, vcc_lo, v4, v13
	s_wait_alu 0xfffd
	v_add_co_ci_u32_e32 v6, vcc_lo, 0, v6, vcc_lo
	s_delay_alu instid0(VALU_DEP_2) | instskip(SKIP_1) | instid1(VALU_DEP_3)
	v_mul_lo_u32 v11, s25, v4
	v_mad_co_u64_u32 v[9:10], null, s24, v4, 0
	v_mul_lo_u32 v12, s24, v6
	s_delay_alu instid0(VALU_DEP_2) | instskip(NEXT) | instid1(VALU_DEP_2)
	v_sub_co_u32 v9, vcc_lo, v7, v9
	v_add3_u32 v10, v10, v12, v11
	s_delay_alu instid0(VALU_DEP_1) | instskip(SKIP_1) | instid1(VALU_DEP_1)
	v_sub_nc_u32_e32 v11, v8, v10
	s_wait_alu 0xfffd
	v_subrev_co_ci_u32_e64 v11, s2, s25, v11, vcc_lo
	v_add_co_u32 v12, s2, v4, 2
	s_wait_alu 0xf1ff
	v_add_co_ci_u32_e64 v13, s2, 0, v6, s2
	v_sub_co_u32 v14, s2, v9, s24
	v_sub_co_ci_u32_e32 v10, vcc_lo, v8, v10, vcc_lo
	s_wait_alu 0xf1ff
	v_subrev_co_ci_u32_e64 v11, s2, 0, v11, s2
	s_delay_alu instid0(VALU_DEP_3) | instskip(NEXT) | instid1(VALU_DEP_3)
	v_cmp_le_u32_e32 vcc_lo, s24, v14
	v_cmp_eq_u32_e64 s2, s25, v10
	s_wait_alu 0xfffd
	v_cndmask_b32_e64 v14, 0, -1, vcc_lo
	v_cmp_le_u32_e32 vcc_lo, s25, v11
	s_wait_alu 0xfffd
	v_cndmask_b32_e64 v15, 0, -1, vcc_lo
	v_cmp_le_u32_e32 vcc_lo, s24, v9
	;; [unrolled: 3-line block ×3, first 2 shown]
	s_wait_alu 0xfffd
	v_cndmask_b32_e64 v16, 0, -1, vcc_lo
	v_cmp_eq_u32_e32 vcc_lo, s25, v11
	s_wait_alu 0xf1ff
	s_delay_alu instid0(VALU_DEP_2)
	v_cndmask_b32_e64 v9, v16, v9, s2
	s_wait_alu 0xfffd
	v_cndmask_b32_e32 v11, v15, v14, vcc_lo
	v_add_co_u32 v14, vcc_lo, v4, 1
	s_wait_alu 0xfffd
	v_add_co_ci_u32_e32 v15, vcc_lo, 0, v6, vcc_lo
	s_delay_alu instid0(VALU_DEP_3) | instskip(SKIP_1) | instid1(VALU_DEP_2)
	v_cmp_ne_u32_e32 vcc_lo, 0, v11
	s_wait_alu 0xfffd
	v_dual_cndmask_b32 v10, v15, v13 :: v_dual_cndmask_b32 v11, v14, v12
	v_cmp_ne_u32_e32 vcc_lo, 0, v9
	s_wait_alu 0xfffd
	s_delay_alu instid0(VALU_DEP_2)
	v_dual_cndmask_b32 v95, v6, v10 :: v_dual_cndmask_b32 v94, v4, v11
.LBB0_4:                                ;   in Loop: Header=BB0_2 Depth=1
	s_wait_alu 0xfffe
	s_and_not1_saveexec_b32 s2, s26
	s_cbranch_execz .LBB0_6
; %bb.5:                                ;   in Loop: Header=BB0_2 Depth=1
	v_cvt_f32_u32_e32 v4, s24
	s_sub_co_i32 s26, 0, s24
	v_mov_b32_e32 v95, v5
	s_delay_alu instid0(VALU_DEP_2) | instskip(NEXT) | instid1(TRANS32_DEP_1)
	v_rcp_iflag_f32_e32 v4, v4
	v_mul_f32_e32 v4, 0x4f7ffffe, v4
	s_delay_alu instid0(VALU_DEP_1) | instskip(SKIP_1) | instid1(VALU_DEP_1)
	v_cvt_u32_f32_e32 v4, v4
	s_wait_alu 0xfffe
	v_mul_lo_u32 v6, s26, v4
	s_delay_alu instid0(VALU_DEP_1) | instskip(NEXT) | instid1(VALU_DEP_1)
	v_mul_hi_u32 v6, v4, v6
	v_add_nc_u32_e32 v4, v4, v6
	s_delay_alu instid0(VALU_DEP_1) | instskip(NEXT) | instid1(VALU_DEP_1)
	v_mul_hi_u32 v4, v7, v4
	v_mul_lo_u32 v6, v4, s24
	s_delay_alu instid0(VALU_DEP_1) | instskip(NEXT) | instid1(VALU_DEP_1)
	v_sub_nc_u32_e32 v6, v7, v6
	v_subrev_nc_u32_e32 v10, s24, v6
	v_cmp_le_u32_e32 vcc_lo, s24, v6
	s_wait_alu 0xfffd
	s_delay_alu instid0(VALU_DEP_2) | instskip(NEXT) | instid1(VALU_DEP_1)
	v_dual_cndmask_b32 v6, v6, v10 :: v_dual_add_nc_u32 v9, 1, v4
	v_cndmask_b32_e32 v4, v4, v9, vcc_lo
	s_delay_alu instid0(VALU_DEP_2) | instskip(NEXT) | instid1(VALU_DEP_2)
	v_cmp_le_u32_e32 vcc_lo, s24, v6
	v_add_nc_u32_e32 v9, 1, v4
	s_wait_alu 0xfffd
	s_delay_alu instid0(VALU_DEP_1)
	v_cndmask_b32_e32 v94, v4, v9, vcc_lo
.LBB0_6:                                ;   in Loop: Header=BB0_2 Depth=1
	s_wait_alu 0xfffe
	s_or_b32 exec_lo, exec_lo, s2
	v_mul_lo_u32 v4, v95, s24
	s_delay_alu instid0(VALU_DEP_2)
	v_mul_lo_u32 v6, v94, s25
	s_load_b64 s[26:27], s[18:19], 0x0
	v_mad_co_u64_u32 v[9:10], null, v94, s24, 0
	s_load_b64 s[24:25], s[16:17], 0x0
	s_add_nc_u64 s[20:21], s[20:21], 1
	s_add_nc_u64 s[16:17], s[16:17], 8
	s_wait_alu 0xfffe
	v_cmp_ge_u64_e64 s2, s[20:21], s[10:11]
	s_add_nc_u64 s[18:19], s[18:19], 8
	s_add_nc_u64 s[22:23], s[22:23], 8
	v_add3_u32 v4, v10, v6, v4
	v_sub_co_u32 v6, vcc_lo, v7, v9
	s_wait_alu 0xfffd
	s_delay_alu instid0(VALU_DEP_2) | instskip(SKIP_2) | instid1(VALU_DEP_1)
	v_sub_co_ci_u32_e32 v4, vcc_lo, v8, v4, vcc_lo
	s_and_b32 vcc_lo, exec_lo, s2
	s_wait_kmcnt 0x0
	v_mul_lo_u32 v7, s26, v4
	v_mul_lo_u32 v8, s27, v6
	v_mad_co_u64_u32 v[1:2], null, s26, v6, v[1:2]
	v_mul_lo_u32 v4, s24, v4
	v_mul_lo_u32 v9, s25, v6
	v_mad_co_u64_u32 v[88:89], null, s24, v6, v[88:89]
	s_delay_alu instid0(VALU_DEP_4) | instskip(NEXT) | instid1(VALU_DEP_2)
	v_add3_u32 v2, v8, v2, v7
	v_add3_u32 v89, v9, v89, v4
	s_wait_alu 0xfffe
	s_cbranch_vccnz .LBB0_8
; %bb.7:                                ;   in Loop: Header=BB0_2 Depth=1
	v_dual_mov_b32 v7, v94 :: v_dual_mov_b32 v8, v95
	s_branch .LBB0_2
.LBB0_8:
	s_load_b64 s[0:1], s[0:1], 0x28
	v_mul_hi_u32 v4, 0xaaaaaaab, v3
	s_lshl_b64 s[10:11], s[10:11], 3
                                        ; implicit-def: $vgpr90
                                        ; implicit-def: $vgpr92
                                        ; implicit-def: $vgpr98
                                        ; implicit-def: $vgpr97
                                        ; implicit-def: $vgpr96
	s_delay_alu instid0(VALU_DEP_1) | instskip(NEXT) | instid1(VALU_DEP_1)
	v_lshrrev_b32_e32 v4, 1, v4
	v_lshl_add_u32 v5, v4, 1, v4
	v_mul_hi_u32 v4, 0x3531ded, v0
	s_delay_alu instid0(VALU_DEP_2) | instskip(SKIP_3) | instid1(VALU_DEP_1)
	v_sub_nc_u32_e32 v3, v3, v5
	s_wait_kmcnt 0x0
	v_cmp_gt_u64_e32 vcc_lo, s[0:1], v[94:95]
	v_cmp_le_u64_e64 s0, s[0:1], v[94:95]
	s_and_saveexec_b32 s1, s0
	s_wait_alu 0xfffe
	s_xor_b32 s0, exec_lo, s1
; %bb.9:
	v_mul_u32_u24_e32 v1, 0x4d, v4
                                        ; implicit-def: $vgpr4
	s_delay_alu instid0(VALU_DEP_1) | instskip(NEXT) | instid1(VALU_DEP_1)
	v_sub_nc_u32_e32 v90, v0, v1
                                        ; implicit-def: $vgpr0
                                        ; implicit-def: $vgpr1_vgpr2
	v_add_nc_u32_e32 v92, 0x4d, v90
	v_add_nc_u32_e32 v98, 0x9a, v90
	;; [unrolled: 1-line block ×4, first 2 shown]
; %bb.10:
	s_wait_alu 0xfffe
	s_or_saveexec_b32 s1, s0
	v_mul_u32_u24_e32 v3, 0x437, v3
	s_add_nc_u64 s[2:3], s[14:15], s[10:11]
	s_delay_alu instid0(VALU_DEP_1)
	v_lshlrev_b32_e32 v103, 4, v3
	s_wait_alu 0xfffe
	s_xor_b32 exec_lo, exec_lo, s1
	s_cbranch_execz .LBB0_12
; %bb.11:
	s_add_nc_u64 s[10:11], s[12:13], s[10:11]
	v_lshlrev_b64_e32 v[1:2], 4, v[1:2]
	s_load_b64 s[10:11], s[10:11], 0x0
	s_wait_kmcnt 0x0
	v_mul_lo_u32 v3, s11, v94
	v_mul_lo_u32 v7, s10, v95
	v_mad_co_u64_u32 v[5:6], null, s10, v94, 0
	s_delay_alu instid0(VALU_DEP_1) | instskip(SKIP_1) | instid1(VALU_DEP_2)
	v_add3_u32 v6, v6, v7, v3
	v_mul_u32_u24_e32 v7, 0x4d, v4
	v_lshlrev_b64_e32 v[3:4], 4, v[5:6]
	s_delay_alu instid0(VALU_DEP_2) | instskip(NEXT) | instid1(VALU_DEP_1)
	v_sub_nc_u32_e32 v90, v0, v7
	v_lshlrev_b32_e32 v56, 4, v90
	s_delay_alu instid0(VALU_DEP_3) | instskip(SKIP_1) | instid1(VALU_DEP_4)
	v_add_co_u32 v0, s0, s4, v3
	s_wait_alu 0xf1ff
	v_add_co_ci_u32_e64 v3, s0, s5, v4, s0
	v_add_nc_u32_e32 v92, 0x4d, v90
	s_delay_alu instid0(VALU_DEP_3) | instskip(SKIP_1) | instid1(VALU_DEP_3)
	v_add_co_u32 v0, s0, v0, v1
	s_wait_alu 0xf1ff
	v_add_co_ci_u32_e64 v1, s0, v3, v2, s0
	v_add_nc_u32_e32 v98, 0x9a, v90
	s_delay_alu instid0(VALU_DEP_3) | instskip(SKIP_1) | instid1(VALU_DEP_3)
	v_add_co_u32 v52, s0, v0, v56
	s_wait_alu 0xf1ff
	v_add_co_ci_u32_e64 v53, s0, 0, v1, s0
	s_clause 0xd
	global_load_b128 v[0:3], v[52:53], off
	global_load_b128 v[4:7], v[52:53], off offset:1232
	global_load_b128 v[8:11], v[52:53], off offset:2464
	;; [unrolled: 1-line block ×13, first 2 shown]
	v_add3_u32 v56, 0, v103, v56
	v_add_nc_u32_e32 v97, 0x134, v90
	v_add_nc_u32_e32 v96, 0x1ce, v90
	s_wait_loadcnt 0xd
	ds_store_b128 v56, v[0:3]
	s_wait_loadcnt 0xc
	ds_store_b128 v56, v[4:7] offset:1232
	s_wait_loadcnt 0xb
	ds_store_b128 v56, v[8:11] offset:2464
	;; [unrolled: 2-line block ×13, first 2 shown]
.LBB0_12:
	s_or_b32 exec_lo, exec_lo, s1
	v_lshlrev_b32_e32 v91, 4, v90
	v_add_nc_u32_e32 v101, 0, v103
	s_load_b64 s[2:3], s[2:3], 0x0
	global_wb scope:SCOPE_SE
	s_wait_dscnt 0x0
	s_wait_kmcnt 0x0
	s_barrier_signal -1
	v_add3_u32 v93, 0, v91, v103
	v_add_nc_u32_e32 v102, v101, v91
	s_barrier_wait -1
	global_inv scope:SCOPE_SE
	v_cmp_gt_u32_e64 s0, 21, v90
	ds_load_b128 v[0:3], v93 offset:8624
	ds_load_b128 v[8:11], v102
	ds_load_b128 v[12:15], v93 offset:1232
	ds_load_b128 v[4:7], v93 offset:9856
	;; [unrolled: 1-line block ×12, first 2 shown]
	global_wb scope:SCOPE_SE
	s_wait_dscnt 0x0
	s_barrier_signal -1
	s_barrier_wait -1
	global_inv scope:SCOPE_SE
	v_lshlrev_b32_e32 v104, 4, v92
	v_add_f64_e64 v[56:57], v[8:9], -v[0:1]
	v_add_f64_e64 v[58:59], v[10:11], -v[2:3]
	;; [unrolled: 1-line block ×14, first 2 shown]
	v_lshl_add_u32 v52, v96, 5, v101
	v_fma_f64 v[44:45], v[8:9], 2.0, -v[56:57]
	v_fma_f64 v[46:47], v[10:11], 2.0, -v[58:59]
	;; [unrolled: 1-line block ×14, first 2 shown]
	v_lshl_add_u32 v48, v90, 5, v101
	v_lshl_add_u32 v49, v92, 5, v101
	;; [unrolled: 1-line block ×4, first 2 shown]
	ds_store_b128 v48, v[44:47]
	ds_store_b128 v48, v[56:59] offset:16
	ds_store_b128 v49, v[12:15]
	ds_store_b128 v49, v[60:63] offset:16
	;; [unrolled: 2-line block ×3, first 2 shown]
	ds_store_b128 v48, v[24:27] offset:7392
	ds_store_b128 v48, v[28:31] offset:7408
	ds_store_b128 v51, v[36:39]
	ds_store_b128 v51, v[32:35] offset:16
	ds_store_b128 v48, v[40:43] offset:12320
	ds_store_b128 v48, v[0:3] offset:12336
	ds_store_b128 v52, v[8:11]
	ds_store_b128 v52, v[4:7] offset:16
	global_wb scope:SCOPE_SE
	s_wait_dscnt 0x0
	s_barrier_signal -1
	s_barrier_wait -1
	global_inv scope:SCOPE_SE
	ds_load_b128 v[44:47], v102
	ds_load_b128 v[84:87], v93 offset:1568
	ds_load_b128 v[80:83], v93 offset:3136
	;; [unrolled: 1-line block ×10, first 2 shown]
                                        ; implicit-def: $vgpr42_vgpr43
                                        ; implicit-def: $vgpr38_vgpr39
                                        ; implicit-def: $vgpr34_vgpr35
                                        ; implicit-def: $vgpr30_vgpr31
                                        ; implicit-def: $vgpr26_vgpr27
                                        ; implicit-def: $vgpr22_vgpr23
                                        ; implicit-def: $vgpr18_vgpr19
                                        ; implicit-def: $vgpr14_vgpr15
	s_and_saveexec_b32 s1, s0
	s_cbranch_execz .LBB0_14
; %bb.13:
	v_add3_u32 v0, 0, v104, v103
	ds_load_b128 v[8:11], v93 offset:2800
	ds_load_b128 v[4:7], v93 offset:4368
	;; [unrolled: 1-line block ×4, first 2 shown]
	ds_load_b128 v[0:3], v0
	ds_load_b128 v[20:23], v93 offset:9072
	ds_load_b128 v[24:27], v93 offset:10640
	;; [unrolled: 1-line block ×6, first 2 shown]
.LBB0_14:
	s_wait_alu 0xfffe
	s_or_b32 exec_lo, exec_lo, s1
	v_and_b32_e32 v105, 1, v90
	s_mov_b32 s20, 0xf8bb580b
	s_mov_b32 s18, 0x8eee2c13
	s_mov_b32 s22, 0x43842ef
	s_mov_b32 s24, 0xbb3a28a1
	v_mul_u32_u24_e32 v99, 10, v105
	s_mov_b32 s26, 0xfd768dbf
	s_mov_b32 s21, 0xbfe14ced
	;; [unrolled: 1-line block ×4, first 2 shown]
	v_lshlrev_b32_e32 v114, 4, v99
	s_mov_b32 s25, 0xbfe82f19
	s_mov_b32 s27, 0xbfd207e7
	;; [unrolled: 1-line block ×4, first 2 shown]
	s_clause 0x1
	global_load_b128 v[106:109], v114, s[8:9]
	global_load_b128 v[110:113], v114, s[8:9] offset:16
	s_mov_b32 s16, 0x640f44db
	s_mov_b32 s12, 0x7f775887
	;; [unrolled: 1-line block ×14, first 2 shown]
	s_wait_alu 0xfffe
	s_mov_b32 s28, s20
	s_mov_b32 s36, s18
	;; [unrolled: 1-line block ×4, first 2 shown]
	s_wait_loadcnt_dscnt 0x109
	v_mul_f64_e32 v[99:100], v[86:87], v[108:109]
	s_delay_alu instid0(VALU_DEP_1) | instskip(SKIP_1) | instid1(VALU_DEP_1)
	v_fma_f64 v[99:100], v[84:85], v[106:107], v[99:100]
	v_mul_f64_e32 v[84:85], v[84:85], v[108:109]
	v_fma_f64 v[86:87], v[86:87], v[106:107], -v[84:85]
	s_wait_loadcnt_dscnt 0x8
	v_mul_f64_e32 v[84:85], v[80:81], v[112:113]
	s_delay_alu instid0(VALU_DEP_1) | instskip(SKIP_1) | instid1(VALU_DEP_1)
	v_fma_f64 v[84:85], v[82:83], v[110:111], -v[84:85]
	v_mul_f64_e32 v[82:83], v[82:83], v[112:113]
	v_fma_f64 v[82:83], v[80:81], v[110:111], v[82:83]
	s_clause 0x1
	global_load_b128 v[106:109], v114, s[8:9] offset:144
	global_load_b128 v[110:113], v114, s[8:9] offset:128
	s_wait_loadcnt_dscnt 0x100
	v_mul_f64_e32 v[80:81], v[76:77], v[108:109]
	s_delay_alu instid0(VALU_DEP_1) | instskip(SKIP_1) | instid1(VALU_DEP_1)
	v_fma_f64 v[80:81], v[78:79], v[106:107], -v[80:81]
	v_mul_f64_e32 v[78:79], v[78:79], v[108:109]
	v_fma_f64 v[76:77], v[76:77], v[106:107], v[78:79]
	s_wait_loadcnt 0x0
	v_mul_f64_e32 v[78:79], v[72:73], v[112:113]
	s_delay_alu instid0(VALU_DEP_2) | instskip(NEXT) | instid1(VALU_DEP_2)
	v_add_f64_e64 v[134:135], v[99:100], -v[76:77]
	v_fma_f64 v[78:79], v[74:75], v[110:111], -v[78:79]
	v_mul_f64_e32 v[74:75], v[74:75], v[112:113]
	s_delay_alu instid0(VALU_DEP_1)
	v_fma_f64 v[72:73], v[72:73], v[110:111], v[74:75]
	s_clause 0x1
	global_load_b128 v[106:109], v114, s[8:9] offset:32
	global_load_b128 v[110:113], v114, s[8:9] offset:48
	v_add_f64_e64 v[162:163], v[82:83], -v[72:73]
	v_add_f64_e32 v[158:159], v[82:83], v[72:73]
	s_wait_loadcnt 0x1
	v_mul_f64_e32 v[74:75], v[68:69], v[108:109]
	s_delay_alu instid0(VALU_DEP_1) | instskip(SKIP_1) | instid1(VALU_DEP_1)
	v_fma_f64 v[74:75], v[70:71], v[106:107], -v[74:75]
	v_mul_f64_e32 v[70:71], v[70:71], v[108:109]
	v_fma_f64 v[68:69], v[68:69], v[106:107], v[70:71]
	s_wait_loadcnt 0x0
	v_mul_f64_e32 v[70:71], v[66:67], v[112:113]
	s_delay_alu instid0(VALU_DEP_1) | instskip(SKIP_1) | instid1(VALU_DEP_1)
	v_fma_f64 v[70:71], v[64:65], v[110:111], v[70:71]
	v_mul_f64_e32 v[64:65], v[64:65], v[112:113]
	v_fma_f64 v[66:67], v[66:67], v[110:111], -v[64:65]
	s_clause 0x1
	global_load_b128 v[106:109], v114, s[8:9] offset:112
	global_load_b128 v[110:113], v114, s[8:9] offset:96
	s_wait_loadcnt 0x1
	v_mul_f64_e32 v[64:65], v[60:61], v[108:109]
	s_delay_alu instid0(VALU_DEP_1) | instskip(SKIP_1) | instid1(VALU_DEP_2)
	v_fma_f64 v[64:65], v[62:63], v[106:107], -v[64:65]
	v_mul_f64_e32 v[62:63], v[62:63], v[108:109]
	v_add_f64_e32 v[170:171], v[74:75], v[64:65]
	s_delay_alu instid0(VALU_DEP_2)
	v_fma_f64 v[60:61], v[60:61], v[106:107], v[62:63]
	s_clause 0x1
	global_load_b128 v[106:109], v114, s[8:9] offset:64
	global_load_b128 v[114:117], v114, s[8:9] offset:80
	global_wb scope:SCOPE_SE
	s_wait_loadcnt 0x0
	s_barrier_signal -1
	s_barrier_wait -1
	global_inv scope:SCOPE_SE
	v_mul_f64_e32 v[174:175], s[16:17], v[170:171]
	v_add_f64_e32 v[166:167], v[68:69], v[60:61]
	v_add_f64_e64 v[172:173], v[68:69], -v[60:61]
	v_mul_f64_e32 v[214:215], s[4:5], v[170:171]
	v_mul_f64_e32 v[62:63], v[58:59], v[108:109]
	s_delay_alu instid0(VALU_DEP_1) | instskip(SKIP_1) | instid1(VALU_DEP_1)
	v_fma_f64 v[62:63], v[56:57], v[106:107], v[62:63]
	v_mul_f64_e32 v[56:57], v[56:57], v[108:109]
	v_fma_f64 v[58:59], v[58:59], v[106:107], -v[56:57]
	v_mul_f64_e32 v[56:57], v[52:53], v[112:113]
	s_delay_alu instid0(VALU_DEP_1) | instskip(SKIP_1) | instid1(VALU_DEP_2)
	v_fma_f64 v[56:57], v[54:55], v[110:111], -v[56:57]
	v_mul_f64_e32 v[54:55], v[54:55], v[112:113]
	v_add_f64_e64 v[176:177], v[66:67], -v[56:57]
	s_delay_alu instid0(VALU_DEP_2) | instskip(SKIP_2) | instid1(VALU_DEP_4)
	v_fma_f64 v[52:53], v[52:53], v[110:111], v[54:55]
	v_mul_f64_e32 v[54:55], v[50:51], v[116:117]
	v_add_f64_e32 v[182:183], v[66:67], v[56:57]
	v_mul_f64_e32 v[180:181], s[24:25], v[176:177]
	s_delay_alu instid0(VALU_DEP_4) | instskip(NEXT) | instid1(VALU_DEP_4)
	v_add_f64_e32 v[178:179], v[70:71], v[52:53]
	v_fma_f64 v[54:55], v[48:49], v[114:115], v[54:55]
	v_mul_f64_e32 v[48:49], v[48:49], v[116:117]
	v_add_f64_e64 v[184:185], v[70:71], -v[52:53]
	v_mul_f64_e32 v[186:187], s[12:13], v[182:183]
	v_mul_f64_e32 v[216:217], s[26:27], v[176:177]
	;; [unrolled: 1-line block ×3, first 2 shown]
	v_add_f64_e32 v[190:191], v[62:63], v[54:55]
	v_fma_f64 v[48:49], v[50:51], v[114:115], -v[48:49]
	v_add_f64_e64 v[50:51], v[86:87], -v[80:81]
	v_add_f64_e32 v[114:115], v[99:100], v[76:77]
	v_add_f64_e32 v[99:100], v[44:45], v[99:100]
	v_add_f64_e64 v[196:197], v[62:63], -v[54:55]
	v_add_f64_e64 v[188:189], v[58:59], -v[48:49]
	v_mul_f64_e32 v[106:107], s[20:21], v[50:51]
	v_mul_f64_e32 v[108:109], s[18:19], v[50:51]
	;; [unrolled: 1-line block ×5, first 2 shown]
	v_add_f64_e32 v[194:195], v[58:59], v[48:49]
	v_mul_f64_e32 v[192:193], s[26:27], v[188:189]
	v_fma_f64 v[116:117], v[114:115], s[4:5], v[106:107]
	v_fma_f64 v[106:107], v[114:115], s[4:5], -v[106:107]
	v_fma_f64 v[118:119], v[114:115], s[10:11], v[108:109]
	v_fma_f64 v[108:109], v[114:115], s[10:11], -v[108:109]
	;; [unrolled: 2-line block ×5, first 2 shown]
	v_add_f64_e32 v[114:115], v[86:87], v[80:81]
	v_add_f64_e32 v[86:87], v[46:47], v[86:87]
	v_mul_f64_e32 v[198:199], s[14:15], v[194:195]
	v_mul_f64_e32 v[206:207], s[24:25], v[188:189]
	;; [unrolled: 1-line block ×5, first 2 shown]
	v_add_f64_e32 v[116:117], v[44:45], v[116:117]
	v_add_f64_e32 v[154:155], v[44:45], v[106:107]
	;; [unrolled: 1-line block ×9, first 2 shown]
	v_mul_f64_e32 v[130:131], s[16:17], v[114:115]
	v_mul_f64_e32 v[126:127], s[4:5], v[114:115]
	;; [unrolled: 1-line block ×5, first 2 shown]
	v_fma_f64 v[138:139], v[134:135], s[30:31], v[130:131]
	v_fma_f64 v[130:131], v[134:135], s[22:23], v[130:131]
	;; [unrolled: 1-line block ×6, first 2 shown]
	s_wait_alu 0xfffe
	v_fma_f64 v[142:143], v[134:135], s[34:35], v[114:115]
	v_fma_f64 v[114:115], v[134:135], s[26:27], v[114:115]
	;; [unrolled: 1-line block ×4, first 2 shown]
	v_add_f64_e32 v[138:139], v[46:47], v[138:139]
	v_add_f64_e32 v[152:153], v[46:47], v[130:131]
	;; [unrolled: 1-line block ×11, first 2 shown]
	v_add_f64_e64 v[126:127], v[84:85], -v[78:79]
	v_add_f64_e32 v[144:145], v[44:45], v[108:109]
	v_mul_f64_e32 v[164:165], s[10:11], v[130:131]
	v_mul_f64_e32 v[112:113], s[12:13], v[130:131]
	;; [unrolled: 1-line block ×6, first 2 shown]
	v_fma_f64 v[46:47], v[162:163], s[36:37], v[164:165]
	v_fma_f64 v[108:109], v[162:163], s[38:39], v[112:113]
	;; [unrolled: 1-line block ×4, first 2 shown]
	s_delay_alu instid0(VALU_DEP_4)
	v_add_f64_e32 v[46:47], v[46:47], v[134:135]
	v_add_f64_e64 v[134:135], v[74:75], -v[64:65]
	v_add_f64_e32 v[108:109], v[108:109], v[136:137]
	v_add_f64_e32 v[112:113], v[112:113], v[128:129]
	v_mul_f64_e32 v[128:129], s[4:5], v[130:131]
	v_add_f64_e32 v[44:45], v[44:45], v[116:117]
	v_mul_f64_e32 v[168:169], s[22:23], v[134:135]
	v_mul_f64_e32 v[114:115], s[34:35], v[134:135]
	s_delay_alu instid0(VALU_DEP_2) | instskip(NEXT) | instid1(VALU_DEP_2)
	v_fma_f64 v[106:107], v[166:167], s[16:17], v[168:169]
	v_fma_f64 v[116:117], v[166:167], s[14:15], v[114:115]
	v_fma_f64 v[114:115], v[166:167], s[14:15], -v[114:115]
	s_delay_alu instid0(VALU_DEP_3) | instskip(SKIP_1) | instid1(VALU_DEP_1)
	v_add_f64_e32 v[44:45], v[106:107], v[44:45]
	v_fma_f64 v[106:107], v[172:173], s[30:31], v[174:175]
	v_add_f64_e32 v[46:47], v[106:107], v[46:47]
	v_fma_f64 v[106:107], v[178:179], s[12:13], v[180:181]
	s_delay_alu instid0(VALU_DEP_1) | instskip(SKIP_1) | instid1(VALU_DEP_1)
	v_add_f64_e32 v[44:45], v[106:107], v[44:45]
	v_fma_f64 v[106:107], v[184:185], s[38:39], v[186:187]
	v_add_f64_e32 v[46:47], v[106:107], v[46:47]
	v_fma_f64 v[106:107], v[190:191], s[14:15], v[192:193]
	s_delay_alu instid0(VALU_DEP_1) | instskip(SKIP_1) | instid1(VALU_DEP_1)
	v_add_f64_e32 v[44:45], v[106:107], v[44:45]
	v_fma_f64 v[106:107], v[196:197], s[34:35], v[198:199]
	v_add_f64_e32 v[46:47], v[106:107], v[46:47]
	v_fma_f64 v[106:107], v[158:159], s[12:13], v[110:111]
	v_fma_f64 v[110:111], v[158:159], s[12:13], -v[110:111]
	s_delay_alu instid0(VALU_DEP_2) | instskip(NEXT) | instid1(VALU_DEP_2)
	v_add_f64_e32 v[106:107], v[106:107], v[118:119]
	v_add_f64_e32 v[110:111], v[110:111], v[144:145]
	v_mul_f64_e32 v[144:145], s[14:15], v[130:131]
	v_mul_f64_e32 v[130:131], s[24:25], v[134:135]
	s_delay_alu instid0(VALU_DEP_4) | instskip(SKIP_2) | instid1(VALU_DEP_2)
	v_add_f64_e32 v[106:107], v[116:117], v[106:107]
	v_mul_f64_e32 v[116:117], s[14:15], v[170:171]
	v_add_f64_e32 v[110:111], v[114:115], v[110:111]
	v_fma_f64 v[118:119], v[172:173], s[26:27], v[116:117]
	v_fma_f64 v[114:115], v[172:173], s[34:35], v[116:117]
	s_delay_alu instid0(VALU_DEP_2) | instskip(SKIP_1) | instid1(VALU_DEP_3)
	v_add_f64_e32 v[108:109], v[118:119], v[108:109]
	v_mul_f64_e32 v[118:119], s[30:31], v[176:177]
	v_add_f64_e32 v[112:113], v[114:115], v[112:113]
	s_delay_alu instid0(VALU_DEP_2) | instskip(SKIP_1) | instid1(VALU_DEP_2)
	v_fma_f64 v[136:137], v[178:179], s[16:17], v[118:119]
	v_fma_f64 v[114:115], v[178:179], s[16:17], -v[118:119]
	v_add_f64_e32 v[106:107], v[136:137], v[106:107]
	v_mul_f64_e32 v[136:137], s[16:17], v[182:183]
	s_delay_alu instid0(VALU_DEP_3) | instskip(NEXT) | instid1(VALU_DEP_2)
	v_add_f64_e32 v[110:111], v[114:115], v[110:111]
	v_fma_f64 v[200:201], v[184:185], s[22:23], v[136:137]
	v_fma_f64 v[114:115], v[184:185], s[30:31], v[136:137]
	v_mul_f64_e32 v[136:137], s[34:35], v[126:127]
	v_mul_f64_e32 v[126:127], s[28:29], v[126:127]
	s_delay_alu instid0(VALU_DEP_4) | instskip(SKIP_2) | instid1(VALU_DEP_2)
	v_add_f64_e32 v[108:109], v[200:201], v[108:109]
	v_mul_f64_e32 v[200:201], s[28:29], v[188:189]
	v_add_f64_e32 v[112:113], v[114:115], v[112:113]
	v_fma_f64 v[202:203], v[190:191], s[4:5], v[200:201]
	v_fma_f64 v[114:115], v[190:191], s[4:5], -v[200:201]
	v_mul_f64_e32 v[200:201], s[10:11], v[170:171]
	s_delay_alu instid0(VALU_DEP_3) | instskip(SKIP_1) | instid1(VALU_DEP_4)
	v_add_f64_e32 v[106:107], v[202:203], v[106:107]
	v_mul_f64_e32 v[202:203], s[4:5], v[194:195]
	v_add_f64_e32 v[110:111], v[114:115], v[110:111]
	v_fma_f64 v[114:115], v[158:159], s[14:15], v[136:137]
	s_delay_alu instid0(VALU_DEP_3) | instskip(SKIP_1) | instid1(VALU_DEP_3)
	v_fma_f64 v[116:117], v[196:197], s[28:29], v[202:203]
	v_fma_f64 v[204:205], v[196:197], s[20:21], v[202:203]
	v_add_f64_e32 v[114:115], v[114:115], v[120:121]
	v_mul_f64_e32 v[202:203], s[20:21], v[176:177]
	v_fma_f64 v[120:121], v[162:163], s[22:23], v[212:213]
	v_add_f64_e32 v[112:113], v[116:117], v[112:113]
	v_fma_f64 v[116:117], v[162:163], s[26:27], v[144:145]
	v_add_f64_e32 v[108:109], v[204:205], v[108:109]
	v_mul_f64_e32 v[204:205], s[4:5], v[182:183]
	v_add_f64_e32 v[120:121], v[120:121], v[140:141]
	v_mul_f64_e32 v[140:141], s[20:21], v[134:135]
	v_add_f64_e32 v[116:117], v[116:117], v[138:139]
	v_mul_f64_e32 v[138:139], s[36:37], v[134:135]
	v_fma_f64 v[134:135], v[166:167], s[12:13], v[130:131]
	s_delay_alu instid0(VALU_DEP_2) | instskip(NEXT) | instid1(VALU_DEP_1)
	v_fma_f64 v[118:119], v[166:167], s[10:11], v[138:139]
	v_add_f64_e32 v[114:115], v[118:119], v[114:115]
	v_fma_f64 v[118:119], v[172:173], s[18:19], v[200:201]
	s_delay_alu instid0(VALU_DEP_1) | instskip(SKIP_1) | instid1(VALU_DEP_1)
	v_add_f64_e32 v[116:117], v[118:119], v[116:117]
	v_fma_f64 v[118:119], v[178:179], s[4:5], v[202:203]
	v_add_f64_e32 v[114:115], v[118:119], v[114:115]
	v_fma_f64 v[118:119], v[184:185], s[28:29], v[204:205]
	s_delay_alu instid0(VALU_DEP_1) | instskip(SKIP_1) | instid1(VALU_DEP_1)
	v_add_f64_e32 v[116:117], v[118:119], v[116:117]
	;; [unrolled: 5-line block ×6, first 2 shown]
	v_fma_f64 v[122:123], v[196:197], s[18:19], v[222:223]
	v_add_f64_e32 v[120:121], v[122:123], v[120:121]
	v_fma_f64 v[122:123], v[158:159], s[4:5], v[126:127]
	v_fma_f64 v[126:127], v[158:159], s[4:5], -v[126:127]
	s_delay_alu instid0(VALU_DEP_2) | instskip(SKIP_1) | instid1(VALU_DEP_3)
	v_add_f64_e32 v[122:123], v[122:123], v[124:125]
	v_fma_f64 v[124:125], v[162:163], s[20:21], v[128:129]
	v_add_f64_e32 v[50:51], v[126:127], v[50:51]
	v_fma_f64 v[126:127], v[162:163], s[28:29], v[128:129]
	v_fma_f64 v[128:129], v[166:167], s[12:13], -v[130:131]
	v_add_f64_e32 v[122:123], v[134:135], v[122:123]
	v_mul_f64_e32 v[134:135], s[12:13], v[170:171]
	v_add_f64_e32 v[124:125], v[124:125], v[142:143]
	v_add_f64_e32 v[126:127], v[126:127], v[150:151]
	;; [unrolled: 1-line block ×3, first 2 shown]
	s_delay_alu instid0(VALU_DEP_4) | instskip(SKIP_2) | instid1(VALU_DEP_3)
	v_fma_f64 v[142:143], v[172:173], s[38:39], v[134:135]
	v_fma_f64 v[128:129], v[172:173], s[24:25], v[134:135]
	;; [unrolled: 1-line block ×3, first 2 shown]
	v_add_f64_e32 v[124:125], v[142:143], v[124:125]
	v_mul_f64_e32 v[142:143], s[36:37], v[176:177]
	s_delay_alu instid0(VALU_DEP_4) | instskip(NEXT) | instid1(VALU_DEP_2)
	v_add_f64_e32 v[126:127], v[128:129], v[126:127]
	v_fma_f64 v[170:171], v[178:179], s[10:11], v[142:143]
	v_fma_f64 v[128:129], v[178:179], s[10:11], -v[142:143]
	s_delay_alu instid0(VALU_DEP_2) | instskip(SKIP_2) | instid1(VALU_DEP_4)
	v_add_f64_e32 v[122:123], v[170:171], v[122:123]
	v_mul_f64_e32 v[170:171], s[10:11], v[182:183]
	v_mul_f64_e32 v[182:183], s[16:17], v[194:195]
	v_add_f64_e32 v[50:51], v[128:129], v[50:51]
	s_delay_alu instid0(VALU_DEP_3) | instskip(SKIP_1) | instid1(VALU_DEP_4)
	v_fma_f64 v[176:177], v[184:185], s[18:19], v[170:171]
	v_fma_f64 v[128:129], v[184:185], s[36:37], v[170:171]
	;; [unrolled: 1-line block ×3, first 2 shown]
	s_delay_alu instid0(VALU_DEP_3) | instskip(SKIP_1) | instid1(VALU_DEP_4)
	v_add_f64_e32 v[124:125], v[176:177], v[124:125]
	v_mul_f64_e32 v[176:177], s[22:23], v[188:189]
	v_add_f64_e32 v[128:129], v[128:129], v[126:127]
	s_delay_alu instid0(VALU_DEP_2) | instskip(NEXT) | instid1(VALU_DEP_2)
	v_fma_f64 v[126:127], v[190:191], s[16:17], -v[176:177]
	v_add_f64_e32 v[128:129], v[130:131], v[128:129]
	v_fma_f64 v[130:131], v[162:163], s[30:31], v[212:213]
	v_fma_f64 v[188:189], v[190:191], s[16:17], v[176:177]
	s_delay_alu instid0(VALU_DEP_4) | instskip(SKIP_1) | instid1(VALU_DEP_4)
	v_add_f64_e32 v[126:127], v[126:127], v[50:51]
	v_fma_f64 v[50:51], v[158:159], s[16:17], -v[210:211]
	v_add_f64_e32 v[130:131], v[130:131], v[132:133]
	v_fma_f64 v[132:133], v[166:167], s[4:5], -v[140:141]
	v_add_f64_e32 v[122:123], v[188:189], v[122:123]
	v_fma_f64 v[188:189], v[196:197], s[30:31], v[182:183]
	v_add_f64_e32 v[50:51], v[50:51], v[148:149]
	s_delay_alu instid0(VALU_DEP_2) | instskip(NEXT) | instid1(VALU_DEP_2)
	v_add_f64_e32 v[124:125], v[188:189], v[124:125]
	v_add_f64_e32 v[50:51], v[132:133], v[50:51]
	v_fma_f64 v[132:133], v[172:173], s[20:21], v[214:215]
	s_delay_alu instid0(VALU_DEP_1) | instskip(SKIP_1) | instid1(VALU_DEP_1)
	v_add_f64_e32 v[130:131], v[132:133], v[130:131]
	v_fma_f64 v[132:133], v[178:179], s[14:15], -v[216:217]
	v_add_f64_e32 v[50:51], v[132:133], v[50:51]
	v_fma_f64 v[132:133], v[184:185], s[26:27], v[218:219]
	s_delay_alu instid0(VALU_DEP_1) | instskip(SKIP_1) | instid1(VALU_DEP_2)
	v_add_f64_e32 v[132:133], v[132:133], v[130:131]
	v_fma_f64 v[130:131], v[190:191], s[10:11], -v[220:221]
	v_add_f64_e32 v[132:133], v[134:135], v[132:133]
	s_delay_alu instid0(VALU_DEP_2) | instskip(SKIP_4) | instid1(VALU_DEP_4)
	v_add_f64_e32 v[130:131], v[130:131], v[50:51]
	v_fma_f64 v[50:51], v[158:159], s[14:15], -v[136:137]
	v_fma_f64 v[134:135], v[162:163], s[34:35], v[144:145]
	v_fma_f64 v[136:137], v[166:167], s[10:11], -v[138:139]
	v_fma_f64 v[138:139], v[196:197], s[24:25], v[208:209]
	v_add_f64_e32 v[50:51], v[50:51], v[146:147]
	s_delay_alu instid0(VALU_DEP_4) | instskip(NEXT) | instid1(VALU_DEP_2)
	v_add_f64_e32 v[134:135], v[134:135], v[152:153]
	v_add_f64_e32 v[50:51], v[136:137], v[50:51]
	v_fma_f64 v[136:137], v[172:173], s[36:37], v[200:201]
	s_delay_alu instid0(VALU_DEP_1) | instskip(SKIP_1) | instid1(VALU_DEP_1)
	v_add_f64_e32 v[134:135], v[136:137], v[134:135]
	v_fma_f64 v[136:137], v[178:179], s[4:5], -v[202:203]
	v_add_f64_e32 v[50:51], v[136:137], v[50:51]
	v_fma_f64 v[136:137], v[184:185], s[20:21], v[204:205]
	s_delay_alu instid0(VALU_DEP_1) | instskip(SKIP_1) | instid1(VALU_DEP_2)
	v_add_f64_e32 v[136:137], v[136:137], v[134:135]
	v_fma_f64 v[134:135], v[190:191], s[12:13], -v[206:207]
	v_add_f64_e32 v[136:137], v[138:139], v[136:137]
	s_delay_alu instid0(VALU_DEP_2) | instskip(SKIP_2) | instid1(VALU_DEP_2)
	v_add_f64_e32 v[134:135], v[134:135], v[50:51]
	v_add_f64_e32 v[50:51], v[99:100], v[82:83]
	;; [unrolled: 1-line block ×4, first 2 shown]
	s_delay_alu instid0(VALU_DEP_2) | instskip(NEXT) | instid1(VALU_DEP_2)
	v_add_f64_e32 v[68:69], v[82:83], v[74:75]
	v_add_f64_e32 v[50:51], v[50:51], v[70:71]
	s_delay_alu instid0(VALU_DEP_2) | instskip(NEXT) | instid1(VALU_DEP_2)
	v_add_f64_e32 v[66:67], v[68:69], v[66:67]
	v_add_f64_e32 v[50:51], v[50:51], v[62:63]
	s_delay_alu instid0(VALU_DEP_2) | instskip(SKIP_1) | instid1(VALU_DEP_3)
	v_add_f64_e32 v[58:59], v[66:67], v[58:59]
	v_fma_f64 v[62:63], v[184:185], s[24:25], v[186:187]
	v_add_f64_e32 v[50:51], v[50:51], v[54:55]
	s_delay_alu instid0(VALU_DEP_3) | instskip(SKIP_2) | instid1(VALU_DEP_4)
	v_add_f64_e32 v[48:49], v[58:59], v[48:49]
	v_fma_f64 v[54:55], v[162:163], s[18:19], v[164:165]
	v_fma_f64 v[58:59], v[172:173], s[22:23], v[174:175]
	v_add_f64_e32 v[50:51], v[50:51], v[52:53]
	s_delay_alu instid0(VALU_DEP_4) | instskip(SKIP_2) | instid1(VALU_DEP_4)
	v_add_f64_e32 v[48:49], v[48:49], v[56:57]
	v_fma_f64 v[56:57], v[166:167], s[16:17], -v[168:169]
	v_add_f64_e32 v[54:55], v[54:55], v[156:157]
	v_add_f64_e32 v[50:51], v[50:51], v[60:61]
	s_delay_alu instid0(VALU_DEP_4) | instskip(SKIP_1) | instid1(VALU_DEP_4)
	v_add_f64_e32 v[48:49], v[48:49], v[64:65]
	v_fma_f64 v[60:61], v[178:179], s[12:13], -v[180:181]
	v_add_f64_e32 v[54:55], v[58:59], v[54:55]
	v_fma_f64 v[58:59], v[196:197], s[26:27], v[198:199]
	v_add_f64_e32 v[50:51], v[50:51], v[72:73]
	v_add_f64_e32 v[52:53], v[48:49], v[78:79]
	s_delay_alu instid0(VALU_DEP_4) | instskip(NEXT) | instid1(VALU_DEP_3)
	v_add_f64_e32 v[54:55], v[62:63], v[54:55]
	v_add_f64_e32 v[48:49], v[50:51], v[76:77]
	s_delay_alu instid0(VALU_DEP_3) | instskip(SKIP_1) | instid1(VALU_DEP_4)
	v_add_f64_e32 v[50:51], v[52:53], v[80:81]
	v_fma_f64 v[52:53], v[158:159], s[10:11], -v[160:161]
	v_add_f64_e32 v[54:55], v[58:59], v[54:55]
	s_delay_alu instid0(VALU_DEP_2) | instskip(NEXT) | instid1(VALU_DEP_1)
	v_add_f64_e32 v[52:53], v[52:53], v[154:155]
	v_add_f64_e32 v[52:53], v[56:57], v[52:53]
	v_fma_f64 v[56:57], v[190:191], s[14:15], -v[192:193]
	s_delay_alu instid0(VALU_DEP_2) | instskip(NEXT) | instid1(VALU_DEP_1)
	v_add_f64_e32 v[52:53], v[60:61], v[52:53]
	v_add_f64_e32 v[52:53], v[56:57], v[52:53]
	v_lshrrev_b32_e32 v56, 1, v90
	s_delay_alu instid0(VALU_DEP_1) | instskip(NEXT) | instid1(VALU_DEP_1)
	v_mul_u32_u24_e32 v56, 22, v56
	v_or_b32_e32 v56, v56, v105
	s_delay_alu instid0(VALU_DEP_1) | instskip(NEXT) | instid1(VALU_DEP_1)
	v_lshlrev_b32_e32 v56, 4, v56
	v_add3_u32 v56, 0, v56, v103
	ds_store_b128 v56, v[106:109] offset:64
	ds_store_b128 v56, v[114:117] offset:96
	ds_store_b128 v56, v[118:121] offset:128
	ds_store_b128 v56, v[122:125] offset:160
	ds_store_b128 v56, v[126:129] offset:192
	ds_store_b128 v56, v[130:133] offset:224
	ds_store_b128 v56, v[134:137] offset:256
	ds_store_b128 v56, v[110:113] offset:288
	ds_store_b128 v56, v[44:47] offset:32
	ds_store_b128 v56, v[48:51]
	ds_store_b128 v56, v[52:55] offset:320
	s_and_saveexec_b32 s1, s0
	s_cbranch_execz .LBB0_16
; %bb.15:
	v_and_b32_e32 v44, 1, v92
	s_delay_alu instid0(VALU_DEP_1) | instskip(NEXT) | instid1(VALU_DEP_1)
	v_mul_u32_u24_e32 v45, 10, v44
	v_lshlrev_b32_e32 v81, 4, v45
	s_clause 0x9
	global_load_b128 v[45:48], v81, s[8:9]
	global_load_b128 v[49:52], v81, s[8:9] offset:64
	global_load_b128 v[53:56], v81, s[8:9] offset:80
	global_load_b128 v[57:60], v81, s[8:9] offset:48
	global_load_b128 v[61:64], v81, s[8:9] offset:96
	global_load_b128 v[65:68], v81, s[8:9] offset:32
	global_load_b128 v[69:72], v81, s[8:9] offset:112
	global_load_b128 v[73:76], v81, s[8:9] offset:16
	global_load_b128 v[77:80], v81, s[8:9] offset:128
	global_load_b128 v[81:84], v81, s[8:9] offset:144
	s_wait_loadcnt 0x9
	v_mul_f64_e32 v[85:86], v[8:9], v[47:48]
	v_mul_f64_e32 v[47:48], v[10:11], v[47:48]
	s_wait_loadcnt 0x7
	v_mul_f64_e32 v[105:106], v[26:27], v[55:56]
	v_mul_f64_e32 v[55:56], v[24:25], v[55:56]
	s_wait_loadcnt 0x6
	v_mul_f64_e32 v[107:108], v[18:19], v[59:60]
	s_wait_loadcnt 0x4
	;; [unrolled: 2-line block ×6, first 2 shown]
	v_mul_f64_e32 v[119:120], v[42:43], v[83:84]
	v_mul_f64_e32 v[67:68], v[12:13], v[67:68]
	;; [unrolled: 1-line block ×11, first 2 shown]
	v_fma_f64 v[85:86], v[10:11], v[45:46], -v[85:86]
	v_fma_f64 v[45:46], v[8:9], v[45:46], v[47:48]
	v_fma_f64 v[24:25], v[24:25], v[53:54], v[105:106]
	v_fma_f64 v[26:27], v[26:27], v[53:54], -v[55:56]
	v_fma_f64 v[16:17], v[16:17], v[57:58], v[107:108]
	v_fma_f64 v[47:48], v[12:13], v[65:66], v[111:112]
	;; [unrolled: 1-line block ×6, first 2 shown]
	v_fma_f64 v[36:37], v[14:15], v[65:66], -v[67:68]
	v_fma_f64 v[14:15], v[34:35], v[69:70], -v[71:72]
	;; [unrolled: 1-line block ×5, first 2 shown]
	v_fma_f64 v[28:29], v[28:29], v[61:62], v[109:110]
	v_fma_f64 v[18:19], v[18:19], v[57:58], -v[59:60]
	v_fma_f64 v[30:31], v[30:31], v[61:62], -v[63:64]
	v_fma_f64 v[20:21], v[20:21], v[49:50], v[99:100]
	v_fma_f64 v[22:23], v[22:23], v[49:50], -v[51:52]
	v_add_f64_e32 v[38:39], v[2:3], v[85:86]
	v_add_f64_e32 v[40:41], v[0:1], v[45:46]
	v_add_f64_e64 v[51:52], v[47:48], -v[12:13]
	v_add_f64_e32 v[79:80], v[47:48], v[12:13]
	v_add_f64_e64 v[53:54], v[32:33], -v[8:9]
	v_add_f64_e64 v[55:56], v[45:46], -v[4:5]
	v_add_f64_e32 v[45:46], v[45:46], v[4:5]
	v_add_f64_e64 v[61:62], v[36:37], -v[14:15]
	v_add_f64_e32 v[71:72], v[36:37], v[14:15]
	v_add_f64_e64 v[63:64], v[34:35], -v[10:11]
	v_add_f64_e64 v[65:66], v[85:86], -v[6:7]
	v_add_f64_e32 v[73:74], v[85:86], v[6:7]
	v_add_f64_e64 v[49:50], v[16:17], -v[28:29]
	v_add_f64_e64 v[59:60], v[18:19], -v[30:31]
	v_add_f64_e32 v[69:70], v[18:19], v[30:31]
	v_add_f64_e32 v[77:78], v[16:17], v[28:29]
	v_add_f64_e64 v[42:43], v[20:21], -v[24:25]
	v_add_f64_e32 v[75:76], v[20:21], v[24:25]
	v_add_f64_e64 v[57:58], v[22:23], -v[26:27]
	v_add_f64_e32 v[67:68], v[22:23], v[26:27]
	v_add_f64_e32 v[38:39], v[38:39], v[34:35]
	;; [unrolled: 1-line block ×5, first 2 shown]
	v_mul_f64_e32 v[85:86], s[24:25], v[51:52]
	v_mul_f64_e32 v[121:122], s[20:21], v[51:52]
	;; [unrolled: 1-line block ×32, first 2 shown]
	v_add_f64_e32 v[36:37], v[38:39], v[36:37]
	v_add_f64_e32 v[38:39], v[40:41], v[47:48]
	v_mul_f64_e32 v[47:48], s[24:25], v[55:56]
	v_mul_f64_e32 v[55:56], s[20:21], v[55:56]
	;; [unrolled: 1-line block ×4, first 2 shown]
	v_fma_f64 v[173:174], v[71:72], s[12:13], v[85:86]
	v_fma_f64 v[85:86], v[71:72], s[12:13], -v[85:86]
	v_fma_f64 v[175:176], v[34:35], s[4:5], v[99:100]
	v_fma_f64 v[177:178], v[73:74], s[14:15], v[105:106]
	v_fma_f64 v[105:106], v[73:74], s[14:15], -v[105:106]
	v_fma_f64 v[193:194], v[73:74], s[16:17], v[141:142]
	v_fma_f64 v[197:198], v[73:74], s[10:11], -v[161:162]
	v_fma_f64 v[141:142], v[73:74], s[16:17], -v[141:142]
	v_fma_f64 v[187:188], v[45:46], s[14:15], -v[115:116]
	v_fma_f64 v[115:116], v[45:46], s[14:15], v[115:116]
	v_fma_f64 v[191:192], v[45:46], s[12:13], -v[131:132]
	v_fma_f64 v[131:132], v[45:46], s[12:13], v[131:132]
	v_fma_f64 v[195:196], v[45:46], s[16:17], -v[151:152]
	v_fma_f64 v[199:200], v[45:46], s[10:11], v[171:172]
	v_fma_f64 v[151:152], v[45:46], s[16:17], v[151:152]
	;; [unrolled: 1-line block ×3, first 2 shown]
	v_fma_f64 v[171:172], v[45:46], s[10:11], -v[171:172]
	v_fma_f64 v[203:204], v[45:46], s[4:5], -v[65:66]
	;; [unrolled: 1-line block ×4, first 2 shown]
	v_fma_f64 v[113:114], v[32:33], s[4:5], v[113:114]
	v_fma_f64 v[205:206], v[34:35], s[12:13], v[159:160]
	v_fma_f64 v[207:208], v[32:33], s[12:13], -v[169:170]
	v_fma_f64 v[159:160], v[34:35], s[12:13], -v[159:160]
	v_fma_f64 v[169:170], v[32:33], s[12:13], v[169:170]
	v_fma_f64 v[183:184], v[79:80], s[12:13], -v[111:112]
	v_fma_f64 v[111:112], v[79:80], s[12:13], v[111:112]
	v_fma_f64 v[213:214], v[71:72], s[16:17], v[51:52]
	v_fma_f64 v[215:216], v[79:80], s[16:17], -v[61:62]
	v_fma_f64 v[51:52], v[71:72], s[16:17], -v[51:52]
	v_fma_f64 v[61:62], v[79:80], s[16:17], v[61:62]
	v_mul_f64_e32 v[109:110], s[36:37], v[59:60]
	v_add_f64_e32 v[18:19], v[36:37], v[18:19]
	v_add_f64_e32 v[16:17], v[38:39], v[16:17]
	v_mul_f64_e32 v[36:37], s[18:19], v[63:64]
	v_fma_f64 v[189:190], v[73:74], s[12:13], v[47:48]
	v_fma_f64 v[47:48], v[73:74], s[12:13], -v[47:48]
	v_fma_f64 v[201:202], v[73:74], s[4:5], v[55:56]
	v_fma_f64 v[55:56], v[73:74], s[4:5], -v[55:56]
	;; [unrolled: 2-line block ×3, first 2 shown]
	v_fma_f64 v[209:210], v[34:35], s[10:11], v[53:54]
	v_add_f64_e32 v[105:106], v[2:3], v[105:106]
	v_mul_f64_e32 v[49:50], s[24:25], v[49:50]
	v_mul_f64_e32 v[59:60], s[24:25], v[59:60]
	v_add_f64_e32 v[141:142], v[2:3], v[141:142]
	v_mul_f64_e32 v[117:118], s[36:37], v[42:43]
	v_add_f64_e32 v[115:116], v[0:1], v[115:116]
	;; [unrolled: 2-line block ×3, first 2 shown]
	v_mul_f64_e32 v[133:134], s[24:25], v[42:43]
	v_mul_f64_e32 v[143:144], s[24:25], v[57:58]
	v_add_f64_e32 v[151:152], v[0:1], v[151:152]
	v_add_f64_e32 v[161:162], v[2:3], v[161:162]
	;; [unrolled: 1-line block ×3, first 2 shown]
	v_mul_f64_e32 v[153:154], s[28:29], v[42:43]
	v_mul_f64_e32 v[163:164], s[28:29], v[57:58]
	v_mul_f64_e32 v[81:82], s[22:23], v[42:43]
	v_mul_f64_e32 v[107:108], s[22:23], v[57:58]
	v_mul_f64_e32 v[42:43], s[26:27], v[42:43]
	v_fma_f64 v[63:64], v[69:70], s[10:11], v[83:84]
	v_fma_f64 v[83:84], v[69:70], s[10:11], -v[83:84]
	v_mul_f64_e32 v[57:58], s[26:27], v[57:58]
	v_fma_f64 v[181:182], v[77:78], s[10:11], -v[109:110]
	v_add_f64_e32 v[18:19], v[18:19], v[22:23]
	v_add_f64_e32 v[16:17], v[16:17], v[20:21]
	v_fma_f64 v[20:21], v[45:46], s[4:5], v[65:66]
	v_fma_f64 v[22:23], v[34:35], s[16:17], v[40:41]
	v_fma_f64 v[45:46], v[32:33], s[16:17], -v[129:130]
	v_fma_f64 v[40:41], v[34:35], s[16:17], -v[40:41]
	v_fma_f64 v[65:66], v[32:33], s[16:17], v[129:130]
	v_fma_f64 v[129:130], v[32:33], s[14:15], -v[149:150]
	v_fma_f64 v[149:150], v[32:33], s[14:15], v[149:150]
	v_fma_f64 v[211:212], v[32:33], s[10:11], -v[36:37]
	v_fma_f64 v[34:35], v[34:35], s[10:11], -v[53:54]
	v_fma_f64 v[32:33], v[32:33], s[10:11], v[36:37]
	v_add_f64_e32 v[36:37], v[2:3], v[177:178]
	v_add_f64_e32 v[53:54], v[0:1], v[187:188]
	;; [unrolled: 1-line block ×12, first 2 shown]
	v_fma_f64 v[55:56], v[79:80], s[4:5], v[127:128]
	v_fma_f64 v[201:202], v[71:72], s[14:15], v[157:158]
	v_fma_f64 v[203:204], v[79:80], s[14:15], -v[167:168]
	v_fma_f64 v[157:158], v[71:72], s[14:15], -v[157:158]
	v_fma_f64 v[167:168], v[79:80], s[14:15], v[167:168]
	v_fma_f64 v[109:110], v[77:78], s[10:11], v[109:110]
	v_fma_f64 v[38:39], v[67:68], s[16:17], v[81:82]
	v_fma_f64 v[179:180], v[75:76], s[16:17], -v[107:108]
	v_fma_f64 v[81:82], v[67:68], s[16:17], -v[81:82]
	v_fma_f64 v[107:108], v[75:76], s[16:17], v[107:108]
	v_add_f64_e32 v[18:19], v[18:19], v[26:27]
	v_add_f64_e32 v[16:17], v[16:17], v[24:25]
	;; [unrolled: 1-line block ×3, first 2 shown]
	v_fma_f64 v[20:21], v[71:72], s[4:5], v[121:122]
	v_fma_f64 v[24:25], v[79:80], s[4:5], -v[127:128]
	v_fma_f64 v[26:27], v[71:72], s[4:5], -v[121:122]
	v_fma_f64 v[121:122], v[71:72], s[10:11], v[137:138]
	v_fma_f64 v[127:128], v[79:80], s[10:11], -v[147:148]
	v_fma_f64 v[137:138], v[71:72], s[10:11], -v[137:138]
	v_fma_f64 v[147:148], v[79:80], s[10:11], v[147:148]
	v_add_f64_e32 v[71:72], v[99:100], v[105:106]
	v_add_f64_e32 v[79:80], v[113:114], v[115:116]
	;; [unrolled: 1-line block ×19, first 2 shown]
	v_fma_f64 v[34:35], v[77:78], s[14:15], v[125:126]
	v_fma_f64 v[149:150], v[69:70], s[16:17], v[155:156]
	v_fma_f64 v[155:156], v[69:70], s[16:17], -v[155:156]
	v_fma_f64 v[159:160], v[77:78], s[16:17], v[165:166]
	v_fma_f64 v[161:162], v[69:70], s[12:13], v[49:50]
	v_fma_f64 v[49:50], v[69:70], s[12:13], -v[49:50]
	v_fma_f64 v[151:152], v[77:78], s[16:17], -v[165:166]
	;; [unrolled: 1-line block ×3, first 2 shown]
	v_fma_f64 v[59:60], v[77:78], s[12:13], v[59:60]
	v_add_f64_e32 v[18:19], v[18:19], v[30:31]
	v_add_f64_e32 v[16:17], v[16:17], v[28:29]
	;; [unrolled: 1-line block ×3, first 2 shown]
	v_fma_f64 v[28:29], v[69:70], s[14:15], v[119:120]
	v_fma_f64 v[30:31], v[77:78], s[14:15], -v[125:126]
	v_fma_f64 v[32:33], v[69:70], s[14:15], -v[119:120]
	v_fma_f64 v[119:120], v[69:70], s[4:5], v[135:136]
	v_fma_f64 v[125:126], v[77:78], s[4:5], -v[145:146]
	v_fma_f64 v[135:136], v[69:70], s[4:5], -v[135:136]
	v_fma_f64 v[145:146], v[77:78], s[4:5], v[145:146]
	v_add_f64_e32 v[69:70], v[85:86], v[71:72]
	v_add_f64_e32 v[71:72], v[111:112], v[79:80]
	v_fma_f64 v[111:112], v[75:76], s[12:13], -v[143:144]
	v_add_f64_e32 v[20:21], v[20:21], v[22:23]
	v_add_f64_e32 v[22:23], v[24:25], v[45:46]
	;; [unrolled: 1-line block ×17, first 2 shown]
	v_fma_f64 v[105:106], v[67:68], s[12:13], v[133:134]
	v_fma_f64 v[127:128], v[75:76], s[4:5], v[163:164]
	v_fma_f64 v[51:52], v[67:68], s[10:11], -v[117:118]
	v_fma_f64 v[113:114], v[67:68], s[12:13], -v[133:134]
	v_fma_f64 v[115:116], v[75:76], s[12:13], v[143:144]
	v_fma_f64 v[129:130], v[67:68], s[14:15], v[42:43]
	v_fma_f64 v[42:43], v[67:68], s[14:15], -v[42:43]
	v_add_f64_e32 v[14:15], v[18:19], v[14:15]
	v_add_f64_e32 v[12:13], v[16:17], v[12:13]
	v_add_f64_e32 v[0:1], v[61:62], v[0:1]
	v_fma_f64 v[16:17], v[67:68], s[10:11], v[117:118]
	v_fma_f64 v[18:19], v[75:76], s[10:11], -v[123:124]
	v_fma_f64 v[61:62], v[75:76], s[10:11], v[123:124]
	v_fma_f64 v[123:124], v[67:68], s[4:5], -v[153:154]
	;; [unrolled: 2-line block ×3, first 2 shown]
	v_fma_f64 v[131:132], v[75:76], s[14:15], -v[57:58]
	v_fma_f64 v[57:58], v[75:76], s[14:15], v[57:58]
	v_add_f64_e32 v[67:68], v[109:110], v[71:72]
	v_add_f64_e32 v[20:21], v[28:29], v[20:21]
	;; [unrolled: 1-line block ×41, first 2 shown]
	v_lshrrev_b32_e32 v45, 1, v92
	s_delay_alu instid0(VALU_DEP_1) | instskip(SKIP_3) | instid1(VALU_DEP_4)
	v_mul_lo_u32 v45, v45, 22
	v_add_f64_e32 v[6:7], v[71:72], v[6:7]
	v_add_f64_e32 v[4:5], v[73:74], v[4:5]
	;; [unrolled: 1-line block ×3, first 2 shown]
	v_or_b32_e32 v44, v45, v44
	s_delay_alu instid0(VALU_DEP_1) | instskip(NEXT) | instid1(VALU_DEP_1)
	v_lshlrev_b32_e32 v44, 4, v44
	v_add3_u32 v44, 0, v44, v103
	ds_store_b128 v44, v[28:31] offset:64
	ds_store_b128 v44, v[24:27] offset:96
	;; [unrolled: 1-line block ×8, first 2 shown]
	ds_store_b128 v44, v[4:7]
	ds_store_b128 v44, v[40:43] offset:32
	ds_store_b128 v44, v[36:39] offset:320
.LBB0_16:
	s_wait_alu 0xfffe
	s_or_b32 exec_lo, exec_lo, s1
	v_lshrrev_b16 v0, 1, v90
	v_lshrrev_b16 v1, 1, v92
	global_wb scope:SCOPE_SE
	s_wait_dscnt 0x0
	s_barrier_signal -1
	s_barrier_wait -1
	v_and_b32_e32 v0, 0x7f, v0
	v_and_b32_e32 v1, 0x7f, v1
	global_inv scope:SCOPE_SE
	s_mov_b32 s14, 0x37e14327
	s_mov_b32 s4, 0x36b3c0b5
	v_mul_lo_u16 v0, 0xbb, v0
	s_mov_b32 s18, 0xe976ee23
	s_mov_b32 s15, 0x3fe948f6
	s_mov_b32 s5, 0x3fac98ee
	s_mov_b32 s19, 0x3fe11646
	v_lshrrev_b16 v4, 11, v0
	v_mul_lo_u16 v0, 0xbb, v1
	s_mov_b32 s10, 0x429ad128
	s_mov_b32 s11, 0xbfebfeb5
	;; [unrolled: 1-line block ×3, first 2 shown]
	v_mul_lo_u16 v1, v4, 22
	v_lshrrev_b16 v3, 11, v0
	s_mov_b32 s16, 0x5476071b
	s_mov_b32 s24, 0xb247c609
	;; [unrolled: 1-line block ×3, first 2 shown]
	v_sub_nc_u16 v0, v90, v1
	v_mul_lo_u16 v1, v3, 22
	s_mov_b32 s17, 0x3fe77f67
	s_mov_b32 s25, 0xbfd5d0dc
	;; [unrolled: 1-line block ×3, first 2 shown]
	v_and_b32_e32 v6, 0xff, v0
	v_sub_nc_u16 v0, v92, v1
	s_mov_b32 s23, 0x3fd5d0dc
	s_wait_alu 0xfffe
	s_mov_b32 s20, s16
	s_mov_b32 s22, s24
	v_mul_u32_u24_e32 v1, 6, v6
	v_and_b32_e32 v7, 0xff, v0
	s_mov_b32 s26, 0x37c3f68c
	s_mov_b32 s27, 0xbfdc38aa
	v_lshlrev_b32_e32 v6, 4, v6
	v_lshlrev_b32_e32 v0, 4, v1
	v_mul_u32_u24_e32 v1, 6, v7
	v_lshlrev_b32_e32 v7, 4, v7
	s_mov_b32 s1, exec_lo
	s_clause 0x2
	global_load_b128 v[8:11], v0, s[8:9] offset:320
	global_load_b128 v[12:15], v0, s[8:9] offset:336
	;; [unrolled: 1-line block ×3, first 2 shown]
	v_lshlrev_b32_e32 v1, 4, v1
	s_clause 0x8
	global_load_b128 v[20:23], v0, s[8:9] offset:384
	global_load_b128 v[24:27], v1, s[8:9] offset:320
	;; [unrolled: 1-line block ×9, first 2 shown]
	v_lshlrev_b32_e32 v0, 4, v98
	v_lshlrev_b32_e32 v1, 4, v97
	s_delay_alu instid0(VALU_DEP_2) | instskip(NEXT) | instid1(VALU_DEP_2)
	v_add3_u32 v2, 0, v0, v103
	v_add3_u32 v5, 0, v1, v103
	v_lshlrev_b32_e32 v0, 4, v96
	ds_load_b128 v[56:59], v2
	ds_load_b128 v[60:63], v5
	ds_load_b128 v[64:67], v93 offset:14784
	ds_load_b128 v[68:71], v93 offset:12320
	;; [unrolled: 1-line block ×6, first 2 shown]
	v_add3_u32 v1, 0, v0, v103
	ds_load_b128 v[105:108], v93 offset:8624
	ds_load_b128 v[109:112], v1
	ds_load_b128 v[113:116], v93 offset:9856
	v_add3_u32 v0, 0, v104, v103
	ds_load_b128 v[117:120], v93 offset:11088
	ds_load_b128 v[121:124], v0
	s_wait_loadcnt_dscnt 0x809
	v_mul_f64_e32 v[129:130], v[70:71], v[22:23]
	v_mul_f64_e32 v[99:100], v[58:59], v[10:11]
	;; [unrolled: 1-line block ×8, first 2 shown]
	s_wait_loadcnt_dscnt 0x708
	v_mul_f64_e32 v[131:132], v[74:75], v[26:27]
	v_mul_f64_e32 v[26:27], v[72:73], v[26:27]
	s_wait_loadcnt_dscnt 0x607
	v_mul_f64_e32 v[133:134], v[78:79], v[30:31]
	v_mul_f64_e32 v[30:31], v[76:77], v[30:31]
	;; [unrolled: 3-line block ×6, first 2 shown]
	v_fma_f64 v[56:57], v[56:57], v[8:9], v[99:100]
	v_fma_f64 v[8:9], v[58:59], v[8:9], -v[10:11]
	v_fma_f64 v[10:11], v[60:61], v[12:13], v[125:126]
	v_fma_f64 v[12:13], v[62:63], v[12:13], -v[14:15]
	;; [unrolled: 2-line block ×4, first 2 shown]
	s_wait_loadcnt 0x1
	v_mul_f64_e32 v[22:23], v[107:108], v[50:51]
	v_mul_f64_e32 v[50:51], v[105:106], v[50:51]
	s_wait_loadcnt_dscnt 0x1
	v_mul_f64_e32 v[58:59], v[119:120], v[54:55]
	v_mul_f64_e32 v[54:55], v[117:118], v[54:55]
	v_fma_f64 v[60:61], v[72:73], v[24:25], v[131:132]
	v_fma_f64 v[24:25], v[74:75], v[24:25], -v[26:27]
	v_fma_f64 v[26:27], v[76:77], v[28:29], v[133:134]
	v_fma_f64 v[28:29], v[78:79], v[28:29], -v[30:31]
	;; [unrolled: 2-line block ×6, first 2 shown]
	v_add_f64_e32 v[46:47], v[56:57], v[14:15]
	v_add_f64_e32 v[62:63], v[8:9], v[16:17]
	;; [unrolled: 1-line block ×4, first 2 shown]
	v_fma_f64 v[22:23], v[105:106], v[48:49], v[22:23]
	v_fma_f64 v[48:49], v[107:108], v[48:49], -v[50:51]
	v_fma_f64 v[50:51], v[117:118], v[52:53], v[58:59]
	v_fma_f64 v[52:53], v[119:120], v[52:53], -v[54:55]
	v_add_f64_e64 v[18:19], v[10:11], -v[18:19]
	v_add_f64_e64 v[12:13], v[12:13], -v[20:21]
	;; [unrolled: 1-line block ×3, first 2 shown]
	ds_load_b128 v[8:11], v102
	v_add_f64_e32 v[54:55], v[60:61], v[30:31]
	v_add_f64_e32 v[58:59], v[24:25], v[32:33]
	;; [unrolled: 1-line block ×4, first 2 shown]
	v_add_f64_e64 v[26:27], v[26:27], -v[34:35]
	v_add_f64_e64 v[28:29], v[28:29], -v[36:37]
	v_add_f64_e32 v[72:73], v[38:39], v[42:43]
	v_add_f64_e32 v[74:75], v[40:41], v[44:45]
	v_add_f64_e64 v[20:21], v[42:43], -v[38:39]
	v_add_f64_e64 v[38:39], v[44:45], -v[40:41]
	;; [unrolled: 1-line block ×5, first 2 shown]
	global_wb scope:SCOPE_SE
	s_wait_dscnt 0x0
	s_barrier_signal -1
	s_barrier_wait -1
	global_inv scope:SCOPE_SE
	v_add_f64_e32 v[14:15], v[64:65], v[46:47]
	v_add_f64_e32 v[42:43], v[66:67], v[62:63]
	;; [unrolled: 1-line block ×4, first 2 shown]
	v_add_f64_e64 v[22:23], v[50:51], -v[22:23]
	v_add_f64_e64 v[44:45], v[52:53], -v[48:49]
	;; [unrolled: 1-line block ×3, first 2 shown]
	v_add_f64_e32 v[32:33], v[68:69], v[54:55]
	v_add_f64_e32 v[48:49], v[70:71], v[58:59]
	v_add_f64_e64 v[50:51], v[46:47], -v[72:73]
	v_add_f64_e64 v[52:53], v[62:63], -v[74:75]
	;; [unrolled: 1-line block ×11, first 2 shown]
	v_add_f64_e32 v[18:19], v[20:21], v[18:19]
	v_add_f64_e32 v[64:65], v[38:39], v[12:13]
	v_add_f64_e64 v[20:21], v[40:41], -v[20:21]
	v_add_f64_e64 v[38:39], v[16:17], -v[38:39]
	v_add_f64_e32 v[72:73], v[72:73], v[14:15]
	v_add_f64_e32 v[42:43], v[74:75], v[42:43]
	v_add_f64_e64 v[14:15], v[54:55], -v[34:35]
	v_add_f64_e64 v[74:75], v[58:59], -v[36:37]
	;; [unrolled: 1-line block ×4, first 2 shown]
	v_add_f64_e32 v[26:27], v[22:23], v[26:27]
	v_add_f64_e32 v[28:29], v[44:45], v[28:29]
	v_mul_f64_e32 v[110:111], s[10:11], v[82:83]
	v_add_f64_e64 v[22:23], v[30:31], -v[22:23]
	v_add_f64_e32 v[32:33], v[34:35], v[32:33]
	v_add_f64_e32 v[48:49], v[36:37], v[48:49]
	v_add_f64_e64 v[34:35], v[34:35], -v[68:69]
	v_add_f64_e64 v[36:37], v[36:37], -v[70:71]
	v_mul_f64_e32 v[50:51], s[14:15], v[50:51]
	v_mul_f64_e32 v[52:53], s[14:15], v[52:53]
	;; [unrolled: 1-line block ×7, first 2 shown]
	v_add_f64_e64 v[44:45], v[24:25], -v[44:45]
	v_mul_f64_e32 v[114:115], s[10:11], v[99:100]
	v_mul_f64_e32 v[116:117], s[10:11], v[104:105]
	v_add_f64_e64 v[54:55], v[68:69], -v[54:55]
	v_add_f64_e64 v[58:59], v[70:71], -v[58:59]
	v_add_f64_e32 v[18:19], v[18:19], v[40:41]
	v_add_f64_e32 v[16:17], v[64:65], v[16:17]
	;; [unrolled: 1-line block ×4, first 2 shown]
	v_mul_f64_e32 v[112:113], s[14:15], v[14:15]
	v_mul_f64_e32 v[74:75], s[14:15], v[74:75]
	;; [unrolled: 1-line block ×4, first 2 shown]
	v_add_f64_e32 v[26:27], v[26:27], v[30:31]
	v_add_f64_e32 v[24:25], v[28:29], v[24:25]
	;; [unrolled: 1-line block ×4, first 2 shown]
	v_mul_f64_e32 v[68:69], s[4:5], v[34:35]
	v_mul_f64_e32 v[70:71], s[4:5], v[36:37]
	v_fma_f64 v[28:29], v[56:57], s[4:5], v[50:51]
	v_fma_f64 v[30:31], v[60:61], s[4:5], v[52:53]
	v_fma_f64 v[40:41], v[46:47], s[16:17], -v[66:67]
	v_fma_f64 v[60:61], v[20:21], s[24:25], v[76:77]
	v_fma_f64 v[64:65], v[38:39], s[24:25], v[78:79]
	v_fma_f64 v[66:67], v[80:81], s[10:11], -v[76:77]
	v_fma_f64 v[76:77], v[82:83], s[10:11], -v[78:79]
	s_wait_alu 0xfffe
	v_fma_f64 v[20:21], v[20:21], s[22:23], -v[108:109]
	v_fma_f64 v[38:39], v[38:39], s[22:23], -v[110:111]
	;; [unrolled: 1-line block ×5, first 2 shown]
	v_fma_f64 v[72:73], v[72:73], s[12:13], v[8:9]
	v_fma_f64 v[42:43], v[42:43], s[12:13], v[10:11]
	;; [unrolled: 1-line block ×6, first 2 shown]
	v_fma_f64 v[78:79], v[99:100], s[10:11], -v[84:85]
	v_fma_f64 v[80:81], v[104:105], s[10:11], -v[86:87]
	;; [unrolled: 1-line block ×4, first 2 shown]
	v_fma_f64 v[32:33], v[32:33], s[12:13], v[12:13]
	v_fma_f64 v[48:49], v[48:49], s[12:13], v[14:15]
	v_fma_f64 v[82:83], v[54:55], s[20:21], -v[112:113]
	v_fma_f64 v[74:75], v[58:59], s[20:21], -v[74:75]
	;; [unrolled: 1-line block ×4, first 2 shown]
	v_fma_f64 v[60:61], v[18:19], s[26:27], v[60:61]
	v_fma_f64 v[64:65], v[16:17], s[26:27], v[64:65]
	;; [unrolled: 1-line block ×6, first 2 shown]
	v_add_f64_e32 v[76:77], v[28:29], v[72:73]
	v_add_f64_e32 v[84:85], v[30:31], v[42:43]
	;; [unrolled: 1-line block ×6, first 2 shown]
	v_fma_f64 v[72:73], v[26:27], s[26:27], v[52:53]
	v_fma_f64 v[62:63], v[24:25], s[26:27], v[62:63]
	;; [unrolled: 1-line block ×6, first 2 shown]
	v_add_f64_e32 v[86:87], v[34:35], v[32:33]
	v_add_f64_e32 v[99:100], v[36:37], v[48:49]
	;; [unrolled: 1-line block ×7, first 2 shown]
	v_add_f64_e64 v[18:19], v[84:85], -v[60:61]
	v_add_f64_e32 v[20:21], v[38:39], v[46:47]
	v_add_f64_e64 v[22:23], v[50:51], -v[70:71]
	v_add_f64_e64 v[24:25], v[28:29], -v[68:69]
	v_add_f64_e32 v[26:27], v[66:67], v[30:31]
	v_add_f64_e32 v[28:29], v[68:69], v[28:29]
	v_add_f64_e64 v[30:31], v[30:31], -v[66:67]
	v_add_f64_e64 v[32:33], v[46:47], -v[38:39]
	v_add_f64_e32 v[34:35], v[70:71], v[50:51]
	v_add_f64_e64 v[36:37], v[76:77], -v[64:65]
	v_add_f64_e32 v[38:39], v[60:61], v[84:85]
	v_add_f64_e32 v[40:41], v[62:63], v[86:87]
	v_add_f64_e64 v[42:43], v[99:100], -v[72:73]
	v_add_f64_e32 v[44:45], v[80:81], v[82:83]
	v_add_f64_e64 v[46:47], v[74:75], -v[78:79]
	v_add_f64_e64 v[48:49], v[54:55], -v[52:53]
	v_add_f64_e32 v[50:51], v[56:57], v[58:59]
	v_add_f64_e32 v[52:53], v[52:53], v[54:55]
	v_add_f64_e64 v[54:55], v[58:59], -v[56:57]
	v_add_f64_e64 v[56:57], v[82:83], -v[80:81]
	v_add_f64_e32 v[58:59], v[78:79], v[74:75]
	v_add_f64_e64 v[60:61], v[86:87], -v[62:63]
	v_add_f64_e32 v[62:63], v[72:73], v[99:100]
	v_and_b32_e32 v64, 0xffff, v4
	v_dual_mov_b32 v4, 0 :: v_dual_and_b32 v65, 0xffff, v3
	v_mul_u32_u24_e32 v66, 6, v90
	v_mul_i32_i24_e32 v3, 6, v92
	s_delay_alu instid0(VALU_DEP_4) | instskip(NEXT) | instid1(VALU_DEP_4)
	v_mad_u32_u24 v67, 0x9a0, v64, 0
	v_mad_u32_u24 v68, 0x9a0, v65, 0
	s_delay_alu instid0(VALU_DEP_4) | instskip(NEXT) | instid1(VALU_DEP_4)
	v_lshlrev_b32_e32 v66, 4, v66
	v_lshlrev_b64_e32 v[64:65], 4, v[3:4]
	s_delay_alu instid0(VALU_DEP_4) | instskip(NEXT) | instid1(VALU_DEP_4)
	v_add3_u32 v3, v67, v6, v103
	v_add3_u32 v6, v68, v7, v103
	ds_store_b128 v3, v[8:11]
	ds_store_b128 v3, v[16:19] offset:352
	ds_store_b128 v3, v[20:23] offset:704
	;; [unrolled: 1-line block ×6, first 2 shown]
	ds_store_b128 v6, v[12:15]
	ds_store_b128 v6, v[40:43] offset:352
	ds_store_b128 v6, v[44:47] offset:704
	;; [unrolled: 1-line block ×6, first 2 shown]
	global_wb scope:SCOPE_SE
	s_wait_dscnt 0x0
	s_barrier_signal -1
	s_barrier_wait -1
	global_inv scope:SCOPE_SE
	s_clause 0x2
	global_load_b128 v[6:9], v66, s[8:9] offset:2448
	global_load_b128 v[10:13], v66, s[8:9] offset:2432
	;; [unrolled: 1-line block ×3, first 2 shown]
	v_add_co_u32 v50, s0, s8, v64
	s_wait_alu 0xf1ff
	v_add_co_ci_u32_e64 v51, s0, s9, v65, s0
	s_clause 0x8
	global_load_b128 v[18:21], v66, s[8:9] offset:2496
	global_load_b128 v[22:25], v[50:51], off offset:2432
	global_load_b128 v[26:29], v[50:51], off offset:2448
	;; [unrolled: 1-line block ×4, first 2 shown]
	global_load_b128 v[38:41], v66, s[8:9] offset:2464
	global_load_b128 v[42:45], v66, s[8:9] offset:2480
	global_load_b128 v[46:49], v[50:51], off offset:2464
	global_load_b128 v[50:53], v[50:51], off offset:2480
	ds_load_b128 v[54:57], v2
	ds_load_b128 v[58:61], v5
	ds_load_b128 v[62:65], v93 offset:14784
	ds_load_b128 v[66:69], v93 offset:12320
	;; [unrolled: 1-line block ×6, first 2 shown]
	ds_load_b128 v[103:106], v1
	ds_load_b128 v[107:110], v93 offset:8624
	ds_load_b128 v[111:114], v93 offset:9856
	;; [unrolled: 1-line block ×3, first 2 shown]
	ds_load_b128 v[119:122], v0
	s_wait_loadcnt_dscnt 0xb0b
	v_mul_f64_e32 v[86:87], v[60:61], v[8:9]
	s_wait_loadcnt 0xa
	v_mul_f64_e32 v[2:3], v[56:57], v[12:13]
	v_mul_f64_e32 v[12:13], v[54:55], v[12:13]
	;; [unrolled: 1-line block ×3, first 2 shown]
	s_wait_loadcnt_dscnt 0x90a
	v_mul_f64_e32 v[99:100], v[64:65], v[16:17]
	v_mul_f64_e32 v[16:17], v[62:63], v[16:17]
	s_wait_loadcnt_dscnt 0x809
	v_mul_f64_e32 v[123:124], v[68:69], v[20:21]
	v_mul_f64_e32 v[20:21], v[66:67], v[20:21]
	;; [unrolled: 3-line block ×8, first 2 shown]
	v_fma_f64 v[1:2], v[54:55], v[10:11], v[2:3]
	v_fma_f64 v[10:11], v[56:57], v[10:11], -v[12:13]
	v_fma_f64 v[12:13], v[58:59], v[6:7], v[86:87]
	v_fma_f64 v[5:6], v[60:61], v[6:7], -v[8:9]
	;; [unrolled: 2-line block ×4, first 2 shown]
	s_wait_loadcnt 0x1
	v_mul_f64_e32 v[20:21], v[109:110], v[48:49]
	v_mul_f64_e32 v[48:49], v[107:108], v[48:49]
	s_wait_loadcnt_dscnt 0x1
	v_mul_f64_e32 v[54:55], v[117:118], v[52:53]
	v_mul_f64_e32 v[52:53], v[115:116], v[52:53]
	v_fma_f64 v[56:57], v[70:71], v[22:23], v[125:126]
	v_fma_f64 v[22:23], v[72:73], v[22:23], -v[24:25]
	v_fma_f64 v[24:25], v[74:75], v[26:27], v[127:128]
	v_fma_f64 v[26:27], v[76:77], v[26:27], -v[28:29]
	;; [unrolled: 2-line block ×6, first 2 shown]
	v_add_f64_e32 v[44:45], v[1:2], v[7:8]
	v_add_f64_e32 v[58:59], v[10:11], v[14:15]
	;; [unrolled: 1-line block ×4, first 2 shown]
	v_fma_f64 v[20:21], v[107:108], v[46:47], v[20:21]
	v_fma_f64 v[46:47], v[109:110], v[46:47], -v[48:49]
	v_fma_f64 v[48:49], v[115:116], v[50:51], v[54:55]
	v_fma_f64 v[50:51], v[117:118], v[50:51], -v[52:53]
	v_add_f64_e64 v[12:13], v[12:13], -v[16:17]
	v_add_f64_e64 v[16:17], v[5:6], -v[18:19]
	;; [unrolled: 1-line block ×4, first 2 shown]
	v_add_f64_e32 v[52:53], v[56:57], v[28:29]
	v_add_f64_e32 v[54:55], v[22:23], v[30:31]
	;; [unrolled: 1-line block ×4, first 2 shown]
	v_add_f64_e64 v[9:10], v[24:25], -v[32:33]
	v_add_f64_e64 v[24:25], v[26:27], -v[34:35]
	v_add_f64_e32 v[68:69], v[36:37], v[40:41]
	v_add_f64_e32 v[70:71], v[38:39], v[42:43]
	v_add_f64_e64 v[18:19], v[40:41], -v[36:37]
	v_add_f64_e64 v[36:37], v[42:43], -v[38:39]
	;; [unrolled: 1-line block ×4, first 2 shown]
	v_add_f64_e32 v[5:6], v[60:61], v[44:45]
	v_add_f64_e32 v[7:8], v[62:63], v[58:59]
	;; [unrolled: 1-line block ×4, first 2 shown]
	v_add_f64_e64 v[20:21], v[48:49], -v[20:21]
	v_add_f64_e64 v[34:35], v[50:51], -v[46:47]
	;; [unrolled: 1-line block ×4, first 2 shown]
	v_add_f64_e32 v[30:31], v[64:65], v[52:53]
	v_add_f64_e32 v[38:39], v[66:67], v[54:55]
	v_add_f64_e64 v[40:41], v[44:45], -v[68:69]
	v_add_f64_e64 v[42:43], v[58:59], -v[70:71]
	;; [unrolled: 1-line block ×10, first 2 shown]
	v_add_f64_e32 v[60:61], v[18:19], v[12:13]
	v_add_f64_e32 v[16:17], v[36:37], v[16:17]
	v_add_f64_e64 v[18:19], v[1:2], -v[18:19]
	v_add_f64_e64 v[36:37], v[14:15], -v[36:37]
	v_add_f64_e32 v[68:69], v[68:69], v[5:6]
	v_add_f64_e32 v[70:71], v[70:71], v[7:8]
	ds_load_b128 v[5:8], v102
	global_wb scope:SCOPE_SE
	s_wait_dscnt 0x0
	v_add_f64_e64 v[76:77], v[52:53], -v[26:27]
	v_add_f64_e64 v[78:79], v[54:55], -v[32:33]
	;; [unrolled: 1-line block ×4, first 2 shown]
	v_add_f64_e32 v[62:63], v[20:21], v[9:10]
	v_add_f64_e32 v[24:25], v[34:35], v[24:25]
	v_mul_f64_e32 v[105:106], s[10:11], v[72:73]
	v_mul_f64_e32 v[107:108], s[10:11], v[74:75]
	v_add_f64_e32 v[30:31], v[26:27], v[30:31]
	v_add_f64_e32 v[38:39], v[32:33], v[38:39]
	v_add_f64_e64 v[26:27], v[26:27], -v[64:65]
	v_add_f64_e64 v[32:33], v[32:33], -v[66:67]
	v_mul_f64_e32 v[40:41], s[14:15], v[40:41]
	v_mul_f64_e32 v[42:43], s[14:15], v[42:43]
	;; [unrolled: 1-line block ×6, first 2 shown]
	v_add_f64_e64 v[20:21], v[28:29], -v[20:21]
	v_add_f64_e64 v[34:35], v[22:23], -v[34:35]
	v_mul_f64_e32 v[109:110], s[10:11], v[84:85]
	v_mul_f64_e32 v[111:112], s[10:11], v[86:87]
	v_add_f64_e64 v[52:53], v[64:65], -v[52:53]
	v_add_f64_e64 v[54:55], v[66:67], -v[54:55]
	v_add_f64_e32 v[1:2], v[60:61], v[1:2]
	v_add_f64_e32 v[13:14], v[16:17], v[14:15]
	s_barrier_signal -1
	s_barrier_wait -1
	global_inv scope:SCOPE_SE
	v_add_f64_e32 v[5:6], v[5:6], v[68:69]
	v_add_f64_e32 v[7:8], v[7:8], v[70:71]
	v_mul_f64_e32 v[76:77], s[14:15], v[76:77]
	v_mul_f64_e32 v[78:79], s[14:15], v[78:79]
	;; [unrolled: 1-line block ×4, first 2 shown]
	v_add_f64_e32 v[15:16], v[62:63], v[28:29]
	v_add_f64_e32 v[22:23], v[24:25], v[22:23]
	;; [unrolled: 1-line block ×4, first 2 shown]
	v_mul_f64_e32 v[64:65], s[4:5], v[26:27]
	v_mul_f64_e32 v[66:67], s[4:5], v[32:33]
	v_fma_f64 v[24:25], v[46:47], s[4:5], v[40:41]
	v_fma_f64 v[28:29], v[48:49], s[4:5], v[42:43]
	v_fma_f64 v[40:41], v[44:45], s[20:21], -v[40:41]
	v_fma_f64 v[42:43], v[58:59], s[20:21], -v[42:43]
	v_fma_f64 v[60:61], v[18:19], s[24:25], v[50:51]
	v_fma_f64 v[62:63], v[36:37], s[24:25], v[56:57]
	v_fma_f64 v[50:51], v[72:73], s[10:11], -v[50:51]
	v_fma_f64 v[17:18], v[18:19], s[22:23], -v[105:106]
	;; [unrolled: 1-line block ×6, first 2 shown]
	v_fma_f64 v[68:69], v[68:69], s[12:13], v[5:6]
	v_fma_f64 v[70:71], v[70:71], s[12:13], v[7:8]
	;; [unrolled: 1-line block ×6, first 2 shown]
	v_fma_f64 v[72:73], v[84:85], s[10:11], -v[80:81]
	v_fma_f64 v[74:75], v[86:87], s[10:11], -v[82:83]
	;; [unrolled: 1-line block ×4, first 2 shown]
	v_fma_f64 v[30:31], v[30:31], s[12:13], v[9:10]
	v_fma_f64 v[38:39], v[38:39], s[12:13], v[11:12]
	v_fma_f64 v[76:77], v[52:53], s[20:21], -v[76:77]
	v_fma_f64 v[78:79], v[54:55], s[20:21], -v[78:79]
	;; [unrolled: 1-line block ×4, first 2 shown]
	v_fma_f64 v[60:61], v[1:2], s[26:27], v[60:61]
	v_fma_f64 v[62:63], v[13:14], s[26:27], v[62:63]
	;; [unrolled: 1-line block ×6, first 2 shown]
	v_add_f64_e32 v[64:65], v[24:25], v[68:69]
	v_add_f64_e32 v[66:67], v[28:29], v[70:71]
	;; [unrolled: 1-line block ×6, first 2 shown]
	v_fma_f64 v[68:69], v[15:16], s[26:27], v[44:45]
	v_fma_f64 v[58:59], v[22:23], s[26:27], v[58:59]
	;; [unrolled: 1-line block ×6, first 2 shown]
	v_add_f64_e32 v[82:83], v[26:27], v[30:31]
	v_add_f64_e32 v[84:85], v[32:33], v[38:39]
	;; [unrolled: 1-line block ×7, first 2 shown]
	v_add_f64_e64 v[15:16], v[66:67], -v[60:61]
	v_add_f64_e32 v[17:18], v[36:37], v[40:41]
	v_add_f64_e64 v[19:20], v[42:43], -v[1:2]
	v_add_f64_e64 v[21:22], v[28:29], -v[56:57]
	v_add_f64_e32 v[23:24], v[50:51], v[46:47]
	v_add_f64_e32 v[25:26], v[56:57], v[28:29]
	v_add_f64_e64 v[27:28], v[46:47], -v[50:51]
	v_add_f64_e64 v[29:30], v[40:41], -v[36:37]
	v_add_f64_e32 v[31:32], v[1:2], v[42:43]
	v_add_f64_e64 v[33:34], v[64:65], -v[62:63]
	v_add_f64_e32 v[35:36], v[60:61], v[66:67]
	v_add_f64_e32 v[37:38], v[58:59], v[82:83]
	v_add_f64_e64 v[39:40], v[84:85], -v[68:69]
	v_add_f64_e32 v[41:42], v[80:81], v[76:77]
	v_add_f64_e64 v[43:44], v[78:79], -v[74:75]
	v_add_f64_e64 v[45:46], v[52:53], -v[72:73]
	v_add_f64_e32 v[47:48], v[70:71], v[54:55]
	v_add_f64_e32 v[49:50], v[72:73], v[52:53]
	v_add_f64_e64 v[51:52], v[54:55], -v[70:71]
	v_add_f64_e64 v[53:54], v[76:77], -v[80:81]
	v_add_f64_e32 v[55:56], v[74:75], v[78:79]
	v_add_f64_e64 v[57:58], v[82:83], -v[58:59]
	v_add_f64_e32 v[59:60], v[68:69], v[84:85]
	ds_store_b128 v93, v[5:8]
	ds_store_b128 v93, v[13:16] offset:2464
	ds_store_b128 v93, v[17:20] offset:4928
	;; [unrolled: 1-line block ×6, first 2 shown]
	ds_store_b128 v0, v[9:12]
	ds_store_b128 v0, v[37:40] offset:2464
	ds_store_b128 v0, v[41:44] offset:4928
	;; [unrolled: 1-line block ×6, first 2 shown]
	global_wb scope:SCOPE_SE
	s_wait_dscnt 0x0
	s_barrier_signal -1
	s_barrier_wait -1
	global_inv scope:SCOPE_SE
	ds_load_b128 v[0:3], v102
	v_sub_nc_u32_e32 v11, v101, v91
                                        ; implicit-def: $vgpr9_vgpr10
                                        ; implicit-def: $vgpr7_vgpr8
                                        ; implicit-def: $vgpr5_vgpr6
	v_cmpx_ne_u32_e32 0, v90
	s_xor_b32 s1, exec_lo, s1
	s_cbranch_execz .LBB0_18
; %bb.17:
	v_mov_b32_e32 v91, v4
	ds_load_b128 v[12:15], v11 offset:17248
	v_lshlrev_b64_e32 v[4:5], 4, v[90:91]
	s_delay_alu instid0(VALU_DEP_1) | instskip(SKIP_1) | instid1(VALU_DEP_2)
	v_add_co_u32 v4, s0, s8, v4
	s_wait_alu 0xf1ff
	v_add_co_ci_u32_e64 v5, s0, s9, v5, s0
	global_load_b128 v[4:7], v[4:5], off offset:17216
	s_wait_dscnt 0x0
	v_add_f64_e64 v[8:9], v[0:1], -v[12:13]
	v_add_f64_e32 v[16:17], v[2:3], v[14:15]
	v_add_f64_e64 v[2:3], v[2:3], -v[14:15]
	v_add_f64_e32 v[0:1], v[0:1], v[12:13]
	s_delay_alu instid0(VALU_DEP_4) | instskip(NEXT) | instid1(VALU_DEP_4)
	v_mul_f64_e32 v[8:9], 0.5, v[8:9]
	v_mul_f64_e32 v[14:15], 0.5, v[16:17]
	s_delay_alu instid0(VALU_DEP_4) | instskip(SKIP_1) | instid1(VALU_DEP_3)
	v_mul_f64_e32 v[2:3], 0.5, v[2:3]
	s_wait_loadcnt 0x0
	v_mul_f64_e32 v[12:13], v[8:9], v[6:7]
	s_delay_alu instid0(VALU_DEP_2) | instskip(SKIP_1) | instid1(VALU_DEP_3)
	v_fma_f64 v[16:17], v[14:15], v[6:7], v[2:3]
	v_fma_f64 v[2:3], v[14:15], v[6:7], -v[2:3]
	v_fma_f64 v[6:7], v[0:1], 0.5, v[12:13]
	v_fma_f64 v[0:1], v[0:1], 0.5, -v[12:13]
	s_delay_alu instid0(VALU_DEP_4) | instskip(NEXT) | instid1(VALU_DEP_4)
	v_fma_f64 v[12:13], -v[4:5], v[8:9], v[16:17]
	v_fma_f64 v[2:3], -v[4:5], v[8:9], v[2:3]
	ds_store_b64 v102, v[12:13] offset:8
	ds_store_b64 v11, v[2:3] offset:17256
	v_fma_f64 v[7:8], v[14:15], v[4:5], v[6:7]
	v_fma_f64 v[9:10], -v[14:15], v[4:5], v[0:1]
	v_dual_mov_b32 v5, v90 :: v_dual_mov_b32 v6, v91
                                        ; implicit-def: $vgpr0_vgpr1
.LBB0_18:
	s_wait_alu 0xfffe
	s_and_not1_saveexec_b32 s0, s1
	s_cbranch_execz .LBB0_20
; %bb.19:
	s_wait_dscnt 0x0
	v_add_f64_e32 v[7:8], v[0:1], v[2:3]
	v_add_f64_e64 v[9:10], v[0:1], -v[2:3]
	s_mov_b32 s4, 0
	v_mov_b32_e32 v5, 0
	s_wait_alu 0xfffe
	s_mov_b32 s5, s4
	s_wait_alu 0xfffe
	v_dual_mov_b32 v0, s4 :: v_dual_mov_b32 v1, s5
	v_mov_b32_e32 v6, 0
	ds_store_b64 v102, v[0:1] offset:8
	ds_store_b64 v11, v[0:1] offset:17256
	ds_load_b64 v[0:1], v101 offset:8632
	s_wait_dscnt 0x0
	v_xor_b32_e32 v1, 0x80000000, v1
	ds_store_b64 v101, v[0:1] offset:8632
.LBB0_20:
	s_wait_alu 0xfffe
	s_or_b32 exec_lo, exec_lo, s0
	v_mov_b32_e32 v93, 0
	v_lshl_add_u32 v24, v92, 4, v101
	v_lshlrev_b64_e32 v[4:5], 4, v[5:6]
	v_lshl_add_u32 v25, v98, 4, v101
	s_wait_dscnt 0x0
	v_lshlrev_b64_e32 v[0:1], 4, v[92:93]
	v_mov_b32_e32 v99, v93
	s_delay_alu instid0(VALU_DEP_1) | instskip(SKIP_1) | instid1(VALU_DEP_4)
	v_lshlrev_b64_e32 v[12:13], 4, v[98:99]
	v_mov_b32_e32 v98, v93
	v_add_co_u32 v0, s0, s8, v0
	s_wait_alu 0xf1ff
	v_add_co_ci_u32_e64 v1, s0, s9, v1, s0
	s_delay_alu instid0(VALU_DEP_4)
	v_add_co_u32 v12, s0, s8, v12
	s_wait_alu 0xf1ff
	v_add_co_ci_u32_e64 v13, s0, s9, v13, s0
	global_load_b128 v[0:3], v[0:1], off offset:17216
	s_add_nc_u64 s[0:1], s[8:9], 0x4340
	global_load_b128 v[12:15], v[12:13], off offset:17216
	ds_store_b64 v102, v[7:8]
	ds_store_b64 v11, v[9:10] offset:17248
	ds_load_b128 v[7:10], v24
	ds_load_b128 v[16:19], v11 offset:16016
	s_wait_dscnt 0x0
	v_add_f64_e64 v[20:21], v[7:8], -v[16:17]
	v_add_f64_e32 v[22:23], v[9:10], v[18:19]
	v_add_f64_e64 v[9:10], v[9:10], -v[18:19]
	v_add_f64_e32 v[7:8], v[7:8], v[16:17]
	s_delay_alu instid0(VALU_DEP_4) | instskip(NEXT) | instid1(VALU_DEP_4)
	v_mul_f64_e32 v[18:19], 0.5, v[20:21]
	v_mul_f64_e32 v[20:21], 0.5, v[22:23]
	s_delay_alu instid0(VALU_DEP_4) | instskip(SKIP_1) | instid1(VALU_DEP_3)
	v_mul_f64_e32 v[9:10], 0.5, v[9:10]
	s_wait_loadcnt 0x1
	v_mul_f64_e32 v[16:17], v[18:19], v[2:3]
	s_delay_alu instid0(VALU_DEP_2) | instskip(SKIP_1) | instid1(VALU_DEP_3)
	v_fma_f64 v[22:23], v[20:21], v[2:3], v[9:10]
	v_fma_f64 v[2:3], v[20:21], v[2:3], -v[9:10]
	v_fma_f64 v[9:10], v[7:8], 0.5, v[16:17]
	v_fma_f64 v[7:8], v[7:8], 0.5, -v[16:17]
	s_delay_alu instid0(VALU_DEP_4) | instskip(NEXT) | instid1(VALU_DEP_4)
	v_fma_f64 v[16:17], -v[0:1], v[18:19], v[22:23]
	v_fma_f64 v[2:3], -v[0:1], v[18:19], v[2:3]
	s_delay_alu instid0(VALU_DEP_4) | instskip(NEXT) | instid1(VALU_DEP_4)
	v_fma_f64 v[9:10], v[20:21], v[0:1], v[9:10]
	v_fma_f64 v[0:1], -v[20:21], v[0:1], v[7:8]
	s_wait_alu 0xfffe
	v_add_co_u32 v20, s0, s0, v4
	s_wait_alu 0xf1ff
	v_add_co_ci_u32_e64 v21, s0, s1, v5, s0
	global_load_b128 v[4:7], v[20:21], off offset:3696
	ds_store_2addr_b64 v24, v[9:10], v[16:17] offset1:1
	ds_store_b128 v11, v[0:3] offset:16016
	ds_load_b128 v[0:3], v25
	ds_load_b128 v[16:19], v11 offset:14784
	v_lshl_add_u32 v10, v97, 4, v101
	s_wait_dscnt 0x0
	v_add_f64_e64 v[8:9], v[0:1], -v[16:17]
	v_add_f64_e32 v[22:23], v[2:3], v[18:19]
	v_add_f64_e64 v[2:3], v[2:3], -v[18:19]
	v_add_f64_e32 v[0:1], v[0:1], v[16:17]
	s_delay_alu instid0(VALU_DEP_4) | instskip(NEXT) | instid1(VALU_DEP_4)
	v_mul_f64_e32 v[8:9], 0.5, v[8:9]
	v_mul_f64_e32 v[18:19], 0.5, v[22:23]
	s_delay_alu instid0(VALU_DEP_4) | instskip(SKIP_1) | instid1(VALU_DEP_3)
	v_mul_f64_e32 v[2:3], 0.5, v[2:3]
	s_wait_loadcnt 0x1
	v_mul_f64_e32 v[16:17], v[8:9], v[14:15]
	s_delay_alu instid0(VALU_DEP_2) | instskip(SKIP_1) | instid1(VALU_DEP_3)
	v_fma_f64 v[22:23], v[18:19], v[14:15], v[2:3]
	v_fma_f64 v[2:3], v[18:19], v[14:15], -v[2:3]
	v_fma_f64 v[14:15], v[0:1], 0.5, v[16:17]
	v_fma_f64 v[0:1], v[0:1], 0.5, -v[16:17]
	s_delay_alu instid0(VALU_DEP_4) | instskip(NEXT) | instid1(VALU_DEP_4)
	v_fma_f64 v[16:17], -v[12:13], v[8:9], v[22:23]
	v_fma_f64 v[2:3], -v[12:13], v[8:9], v[2:3]
	s_delay_alu instid0(VALU_DEP_4) | instskip(NEXT) | instid1(VALU_DEP_4)
	v_fma_f64 v[8:9], v[18:19], v[12:13], v[14:15]
	v_fma_f64 v[0:1], -v[18:19], v[12:13], v[0:1]
	v_lshlrev_b64_e32 v[12:13], 4, v[97:98]
	s_delay_alu instid0(VALU_DEP_1) | instskip(SKIP_1) | instid1(VALU_DEP_2)
	v_add_co_u32 v12, s0, s8, v12
	s_wait_alu 0xf1ff
	v_add_co_ci_u32_e64 v13, s0, s9, v13, s0
	global_load_b128 v[12:15], v[12:13], off offset:17216
	ds_store_2addr_b64 v25, v[8:9], v[16:17] offset1:1
	ds_store_b128 v11, v[0:3] offset:14784
	ds_load_b128 v[0:3], v102 offset:3696
	ds_load_b128 v[16:19], v11 offset:13552
	s_wait_dscnt 0x0
	v_add_f64_e64 v[8:9], v[0:1], -v[16:17]
	v_add_f64_e32 v[22:23], v[2:3], v[18:19]
	v_add_f64_e64 v[2:3], v[2:3], -v[18:19]
	v_add_f64_e32 v[0:1], v[0:1], v[16:17]
	global_load_b128 v[18:21], v[20:21], off offset:6160
	v_mul_f64_e32 v[8:9], 0.5, v[8:9]
	v_mul_f64_e32 v[22:23], 0.5, v[22:23]
	;; [unrolled: 1-line block ×3, first 2 shown]
	s_wait_loadcnt 0x2
	s_delay_alu instid0(VALU_DEP_3) | instskip(NEXT) | instid1(VALU_DEP_2)
	v_mul_f64_e32 v[16:17], v[8:9], v[6:7]
	v_fma_f64 v[24:25], v[22:23], v[6:7], v[2:3]
	v_fma_f64 v[2:3], v[22:23], v[6:7], -v[2:3]
	s_delay_alu instid0(VALU_DEP_3) | instskip(SKIP_1) | instid1(VALU_DEP_4)
	v_fma_f64 v[6:7], v[0:1], 0.5, v[16:17]
	v_fma_f64 v[0:1], v[0:1], 0.5, -v[16:17]
	v_fma_f64 v[16:17], -v[4:5], v[8:9], v[24:25]
	s_delay_alu instid0(VALU_DEP_4) | instskip(NEXT) | instid1(VALU_DEP_4)
	v_fma_f64 v[2:3], -v[4:5], v[8:9], v[2:3]
	v_fma_f64 v[6:7], v[22:23], v[4:5], v[6:7]
	s_delay_alu instid0(VALU_DEP_4)
	v_fma_f64 v[0:1], -v[22:23], v[4:5], v[0:1]
	v_dual_mov_b32 v97, v93 :: v_dual_add_nc_u32 v4, 0x800, v102
	ds_store_2addr_b64 v4, v[6:7], v[16:17] offset0:206 offset1:207
	ds_store_b128 v11, v[0:3] offset:13552
	ds_load_b128 v[0:3], v10
	ds_load_b128 v[4:7], v11 offset:12320
	s_wait_dscnt 0x0
	v_add_f64_e64 v[8:9], v[0:1], -v[4:5]
	v_add_f64_e32 v[16:17], v[2:3], v[6:7]
	v_add_f64_e64 v[2:3], v[2:3], -v[6:7]
	v_add_f64_e32 v[0:1], v[0:1], v[4:5]
	v_lshlrev_b64_e32 v[6:7], 4, v[96:97]
	s_delay_alu instid0(VALU_DEP_1) | instskip(SKIP_1) | instid1(VALU_DEP_2)
	v_add_co_u32 v6, s0, s8, v6
	s_wait_alu 0xf1ff
	v_add_co_ci_u32_e64 v7, s0, s9, v7, s0
	v_mul_f64_e32 v[22:23], 0.5, v[8:9]
	v_mul_f64_e32 v[16:17], 0.5, v[16:17]
	;; [unrolled: 1-line block ×3, first 2 shown]
	global_load_b128 v[6:9], v[6:7], off offset:17216
	s_wait_loadcnt 0x2
	v_mul_f64_e32 v[4:5], v[22:23], v[14:15]
	v_fma_f64 v[24:25], v[16:17], v[14:15], v[2:3]
	v_fma_f64 v[2:3], v[16:17], v[14:15], -v[2:3]
	s_delay_alu instid0(VALU_DEP_3) | instskip(SKIP_1) | instid1(VALU_DEP_4)
	v_fma_f64 v[14:15], v[0:1], 0.5, v[4:5]
	v_fma_f64 v[0:1], v[0:1], 0.5, -v[4:5]
	v_fma_f64 v[4:5], -v[12:13], v[22:23], v[24:25]
	s_delay_alu instid0(VALU_DEP_4) | instskip(NEXT) | instid1(VALU_DEP_4)
	v_fma_f64 v[2:3], -v[12:13], v[22:23], v[2:3]
	v_fma_f64 v[14:15], v[16:17], v[12:13], v[14:15]
	s_delay_alu instid0(VALU_DEP_4)
	v_fma_f64 v[0:1], -v[16:17], v[12:13], v[0:1]
	ds_store_2addr_b64 v10, v[14:15], v[4:5] offset1:1
	ds_store_b128 v11, v[0:3] offset:12320
	v_add_nc_u32_e32 v10, 0x1800, v102
	ds_load_b128 v[0:3], v102 offset:6160
	ds_load_b128 v[12:15], v11 offset:11088
	s_wait_dscnt 0x0
	v_add_f64_e64 v[4:5], v[0:1], -v[12:13]
	v_add_f64_e32 v[16:17], v[2:3], v[14:15]
	v_add_f64_e64 v[2:3], v[2:3], -v[14:15]
	v_add_f64_e32 v[0:1], v[0:1], v[12:13]
	s_delay_alu instid0(VALU_DEP_4) | instskip(NEXT) | instid1(VALU_DEP_4)
	v_mul_f64_e32 v[4:5], 0.5, v[4:5]
	v_mul_f64_e32 v[14:15], 0.5, v[16:17]
	s_delay_alu instid0(VALU_DEP_4) | instskip(SKIP_1) | instid1(VALU_DEP_3)
	v_mul_f64_e32 v[2:3], 0.5, v[2:3]
	s_wait_loadcnt 0x1
	v_mul_f64_e32 v[12:13], v[4:5], v[20:21]
	s_delay_alu instid0(VALU_DEP_2) | instskip(SKIP_1) | instid1(VALU_DEP_3)
	v_fma_f64 v[16:17], v[14:15], v[20:21], v[2:3]
	v_fma_f64 v[2:3], v[14:15], v[20:21], -v[2:3]
	v_fma_f64 v[20:21], v[0:1], 0.5, v[12:13]
	v_fma_f64 v[0:1], v[0:1], 0.5, -v[12:13]
	s_delay_alu instid0(VALU_DEP_4) | instskip(NEXT) | instid1(VALU_DEP_4)
	v_fma_f64 v[12:13], -v[18:19], v[4:5], v[16:17]
	v_fma_f64 v[2:3], -v[18:19], v[4:5], v[2:3]
	s_delay_alu instid0(VALU_DEP_4) | instskip(NEXT) | instid1(VALU_DEP_4)
	v_fma_f64 v[4:5], v[14:15], v[18:19], v[20:21]
	v_fma_f64 v[0:1], -v[14:15], v[18:19], v[0:1]
	v_lshl_add_u32 v18, v96, 4, v101
	ds_store_2addr_b64 v10, v[4:5], v[12:13] offset0:2 offset1:3
	ds_store_b128 v11, v[0:3] offset:11088
	ds_load_b128 v[0:3], v18
	ds_load_b128 v[12:15], v11 offset:9856
	s_wait_dscnt 0x0
	v_add_f64_e64 v[4:5], v[0:1], -v[12:13]
	v_add_f64_e32 v[16:17], v[2:3], v[14:15]
	v_add_f64_e64 v[2:3], v[2:3], -v[14:15]
	v_add_f64_e32 v[0:1], v[0:1], v[12:13]
	s_delay_alu instid0(VALU_DEP_4) | instskip(NEXT) | instid1(VALU_DEP_4)
	v_mul_f64_e32 v[4:5], 0.5, v[4:5]
	v_mul_f64_e32 v[14:15], 0.5, v[16:17]
	s_delay_alu instid0(VALU_DEP_4) | instskip(SKIP_1) | instid1(VALU_DEP_3)
	v_mul_f64_e32 v[2:3], 0.5, v[2:3]
	s_wait_loadcnt 0x0
	v_mul_f64_e32 v[12:13], v[4:5], v[8:9]
	s_delay_alu instid0(VALU_DEP_2) | instskip(SKIP_1) | instid1(VALU_DEP_3)
	v_fma_f64 v[16:17], v[14:15], v[8:9], v[2:3]
	v_fma_f64 v[2:3], v[14:15], v[8:9], -v[2:3]
	v_fma_f64 v[8:9], v[0:1], 0.5, v[12:13]
	v_fma_f64 v[0:1], v[0:1], 0.5, -v[12:13]
	s_delay_alu instid0(VALU_DEP_4) | instskip(NEXT) | instid1(VALU_DEP_4)
	v_fma_f64 v[12:13], -v[6:7], v[4:5], v[16:17]
	v_fma_f64 v[2:3], -v[6:7], v[4:5], v[2:3]
	s_delay_alu instid0(VALU_DEP_4) | instskip(NEXT) | instid1(VALU_DEP_4)
	v_fma_f64 v[4:5], v[14:15], v[6:7], v[8:9]
	v_fma_f64 v[0:1], -v[14:15], v[6:7], v[0:1]
	ds_store_2addr_b64 v18, v[4:5], v[12:13] offset1:1
	ds_store_b128 v11, v[0:3] offset:9856
	global_wb scope:SCOPE_SE
	s_wait_dscnt 0x0
	s_barrier_signal -1
	s_barrier_wait -1
	global_inv scope:SCOPE_SE
	s_and_saveexec_b32 s0, vcc_lo
	s_cbranch_execz .LBB0_23
; %bb.21:
	v_mul_lo_u32 v2, s3, v94
	v_mul_lo_u32 v3, s2, v95
	v_mad_co_u64_u32 v[0:1], null, s2, v94, 0
	v_dual_mov_b32 v91, v93 :: v_dual_add_nc_u32 v92, 0x4d, v90
	v_lshlrev_b64_e32 v[11:12], 4, v[88:89]
	s_delay_alu instid0(VALU_DEP_2) | instskip(NEXT) | instid1(VALU_DEP_4)
	v_lshlrev_b64_e32 v[13:14], 4, v[90:91]
	v_add3_u32 v1, v1, v3, v2
	v_lshl_add_u32 v2, v90, 4, v101
	v_lshlrev_b64_e32 v[15:16], 4, v[92:93]
	ds_load_b128 v[3:6], v2
	ds_load_b128 v[7:10], v2 offset:1232
	v_lshlrev_b64_e32 v[0:1], 4, v[0:1]
	v_add_nc_u32_e32 v92, 0x9a, v90
	s_delay_alu instid0(VALU_DEP_2) | instskip(SKIP_1) | instid1(VALU_DEP_3)
	v_add_co_u32 v0, vcc_lo, s6, v0
	s_wait_alu 0xfffd
	v_add_co_ci_u32_e32 v1, vcc_lo, s7, v1, vcc_lo
	s_delay_alu instid0(VALU_DEP_2) | instskip(SKIP_1) | instid1(VALU_DEP_2)
	v_add_co_u32 v0, vcc_lo, v0, v11
	s_wait_alu 0xfffd
	v_add_co_ci_u32_e32 v1, vcc_lo, v1, v12, vcc_lo
	s_delay_alu instid0(VALU_DEP_2) | instskip(SKIP_1) | instid1(VALU_DEP_2)
	v_add_co_u32 v11, vcc_lo, v0, v13
	s_wait_alu 0xfffd
	v_add_co_ci_u32_e32 v12, vcc_lo, v1, v14, vcc_lo
	v_add_co_u32 v13, vcc_lo, v0, v15
	s_wait_alu 0xfffd
	v_add_co_ci_u32_e32 v14, vcc_lo, v1, v16, vcc_lo
	v_lshlrev_b64_e32 v[15:16], 4, v[92:93]
	v_add_nc_u32_e32 v92, 0xe7, v90
	s_wait_dscnt 0x1
	global_store_b128 v[11:12], v[3:6], off
	s_wait_dscnt 0x0
	global_store_b128 v[13:14], v[7:10], off
	ds_load_b128 v[3:6], v2 offset:2464
	ds_load_b128 v[7:10], v2 offset:3696
	v_add_co_u32 v21, vcc_lo, v0, v15
	v_lshlrev_b64_e32 v[19:20], 4, v[92:93]
	v_add_nc_u32_e32 v92, 0x134, v90
	s_wait_alu 0xfffd
	v_add_co_ci_u32_e32 v22, vcc_lo, v1, v16, vcc_lo
	ds_load_b128 v[11:14], v2 offset:4928
	ds_load_b128 v[15:18], v2 offset:6160
	v_lshlrev_b64_e32 v[23:24], 4, v[92:93]
	v_add_nc_u32_e32 v92, 0x181, v90
	v_add_co_u32 v19, vcc_lo, v0, v19
	s_wait_alu 0xfffd
	v_add_co_ci_u32_e32 v20, vcc_lo, v1, v20, vcc_lo
	s_delay_alu instid0(VALU_DEP_3) | instskip(SKIP_4) | instid1(VALU_DEP_4)
	v_lshlrev_b64_e32 v[25:26], 4, v[92:93]
	v_add_nc_u32_e32 v92, 0x1ce, v90
	v_add_co_u32 v23, vcc_lo, v0, v23
	s_wait_alu 0xfffd
	v_add_co_ci_u32_e32 v24, vcc_lo, v1, v24, vcc_lo
	v_add_co_u32 v25, vcc_lo, v0, v25
	v_lshlrev_b64_e32 v[27:28], 4, v[92:93]
	v_add_nc_u32_e32 v92, 0x21b, v90
	s_wait_alu 0xfffd
	v_add_co_ci_u32_e32 v26, vcc_lo, v1, v26, vcc_lo
	s_wait_dscnt 0x3
	global_store_b128 v[21:22], v[3:6], off
	s_wait_dscnt 0x2
	global_store_b128 v[19:20], v[7:10], off
	;; [unrolled: 2-line block ×4, first 2 shown]
	ds_load_b128 v[3:6], v2 offset:7392
	ds_load_b128 v[7:10], v2 offset:8624
	v_lshlrev_b64_e32 v[19:20], 4, v[92:93]
	v_add_nc_u32_e32 v92, 0x268, v90
	ds_load_b128 v[11:14], v2 offset:9856
	ds_load_b128 v[15:18], v2 offset:11088
	v_add_co_u32 v21, vcc_lo, v0, v27
	s_wait_alu 0xfffd
	v_add_co_ci_u32_e32 v22, vcc_lo, v1, v28, vcc_lo
	v_lshlrev_b64_e32 v[23:24], 4, v[92:93]
	v_add_nc_u32_e32 v92, 0x2b5, v90
	v_add_co_u32 v19, vcc_lo, v0, v19
	s_wait_alu 0xfffd
	v_add_co_ci_u32_e32 v20, vcc_lo, v1, v20, vcc_lo
	s_delay_alu instid0(VALU_DEP_3) | instskip(SKIP_4) | instid1(VALU_DEP_3)
	v_lshlrev_b64_e32 v[25:26], 4, v[92:93]
	v_add_nc_u32_e32 v92, 0x302, v90
	v_add_co_u32 v23, vcc_lo, v0, v23
	s_wait_alu 0xfffd
	v_add_co_ci_u32_e32 v24, vcc_lo, v1, v24, vcc_lo
	v_lshlrev_b64_e32 v[27:28], 4, v[92:93]
	v_add_nc_u32_e32 v92, 0x34f, v90
	v_add_co_u32 v25, vcc_lo, v0, v25
	s_wait_alu 0xfffd
	v_add_co_ci_u32_e32 v26, vcc_lo, v1, v26, vcc_lo
	s_wait_dscnt 0x3
	global_store_b128 v[21:22], v[3:6], off
	s_wait_dscnt 0x2
	global_store_b128 v[19:20], v[7:10], off
	;; [unrolled: 2-line block ×4, first 2 shown]
	v_lshlrev_b64_e32 v[21:22], 4, v[92:93]
	v_add_nc_u32_e32 v92, 0x39c, v90
	ds_load_b128 v[3:6], v2 offset:12320
	ds_load_b128 v[7:10], v2 offset:13552
	;; [unrolled: 1-line block ×4, first 2 shown]
	v_add_co_u32 v19, vcc_lo, v0, v27
	s_wait_alu 0xfffd
	v_add_co_ci_u32_e32 v20, vcc_lo, v1, v28, vcc_lo
	v_lshlrev_b64_e32 v[23:24], 4, v[92:93]
	v_add_nc_u32_e32 v92, 0x3e9, v90
	v_add_co_u32 v21, vcc_lo, v0, v21
	s_wait_alu 0xfffd
	v_add_co_ci_u32_e32 v22, vcc_lo, v1, v22, vcc_lo
	s_delay_alu instid0(VALU_DEP_3) | instskip(SKIP_3) | instid1(VALU_DEP_3)
	v_lshlrev_b64_e32 v[25:26], 4, v[92:93]
	v_add_co_u32 v23, vcc_lo, v0, v23
	s_wait_alu 0xfffd
	v_add_co_ci_u32_e32 v24, vcc_lo, v1, v24, vcc_lo
	v_add_co_u32 v25, vcc_lo, v0, v25
	s_wait_alu 0xfffd
	v_add_co_ci_u32_e32 v26, vcc_lo, v1, v26, vcc_lo
	v_cmp_eq_u32_e32 vcc_lo, 0x4c, v90
	s_wait_dscnt 0x3
	global_store_b128 v[19:20], v[3:6], off
	s_wait_dscnt 0x2
	global_store_b128 v[21:22], v[7:10], off
	;; [unrolled: 2-line block ×4, first 2 shown]
	s_and_b32 exec_lo, exec_lo, vcc_lo
	s_cbranch_execz .LBB0_23
; %bb.22:
	ds_load_b128 v[2:5], v2 offset:16032
	s_wait_dscnt 0x0
	global_store_b128 v[0:1], v[2:5], off offset:17248
.LBB0_23:
	s_nop 0
	s_sendmsg sendmsg(MSG_DEALLOC_VGPRS)
	s_endpgm
	.section	.rodata,"a",@progbits
	.p2align	6, 0x0
	.amdhsa_kernel fft_rtc_back_len1078_factors_2_11_7_7_wgs_231_tpt_77_halfLds_dp_op_CI_CI_unitstride_sbrr_R2C_dirReg
		.amdhsa_group_segment_fixed_size 0
		.amdhsa_private_segment_fixed_size 0
		.amdhsa_kernarg_size 104
		.amdhsa_user_sgpr_count 2
		.amdhsa_user_sgpr_dispatch_ptr 0
		.amdhsa_user_sgpr_queue_ptr 0
		.amdhsa_user_sgpr_kernarg_segment_ptr 1
		.amdhsa_user_sgpr_dispatch_id 0
		.amdhsa_user_sgpr_private_segment_size 0
		.amdhsa_wavefront_size32 1
		.amdhsa_uses_dynamic_stack 0
		.amdhsa_enable_private_segment 0
		.amdhsa_system_sgpr_workgroup_id_x 1
		.amdhsa_system_sgpr_workgroup_id_y 0
		.amdhsa_system_sgpr_workgroup_id_z 0
		.amdhsa_system_sgpr_workgroup_info 0
		.amdhsa_system_vgpr_workitem_id 0
		.amdhsa_next_free_vgpr 224
		.amdhsa_next_free_sgpr 40
		.amdhsa_reserve_vcc 1
		.amdhsa_float_round_mode_32 0
		.amdhsa_float_round_mode_16_64 0
		.amdhsa_float_denorm_mode_32 3
		.amdhsa_float_denorm_mode_16_64 3
		.amdhsa_fp16_overflow 0
		.amdhsa_workgroup_processor_mode 1
		.amdhsa_memory_ordered 1
		.amdhsa_forward_progress 0
		.amdhsa_round_robin_scheduling 0
		.amdhsa_exception_fp_ieee_invalid_op 0
		.amdhsa_exception_fp_denorm_src 0
		.amdhsa_exception_fp_ieee_div_zero 0
		.amdhsa_exception_fp_ieee_overflow 0
		.amdhsa_exception_fp_ieee_underflow 0
		.amdhsa_exception_fp_ieee_inexact 0
		.amdhsa_exception_int_div_zero 0
	.end_amdhsa_kernel
	.text
.Lfunc_end0:
	.size	fft_rtc_back_len1078_factors_2_11_7_7_wgs_231_tpt_77_halfLds_dp_op_CI_CI_unitstride_sbrr_R2C_dirReg, .Lfunc_end0-fft_rtc_back_len1078_factors_2_11_7_7_wgs_231_tpt_77_halfLds_dp_op_CI_CI_unitstride_sbrr_R2C_dirReg
                                        ; -- End function
	.section	.AMDGPU.csdata,"",@progbits
; Kernel info:
; codeLenInByte = 14180
; NumSgprs: 42
; NumVgprs: 224
; ScratchSize: 0
; MemoryBound: 0
; FloatMode: 240
; IeeeMode: 1
; LDSByteSize: 0 bytes/workgroup (compile time only)
; SGPRBlocks: 5
; VGPRBlocks: 27
; NumSGPRsForWavesPerEU: 42
; NumVGPRsForWavesPerEU: 224
; Occupancy: 6
; WaveLimiterHint : 1
; COMPUTE_PGM_RSRC2:SCRATCH_EN: 0
; COMPUTE_PGM_RSRC2:USER_SGPR: 2
; COMPUTE_PGM_RSRC2:TRAP_HANDLER: 0
; COMPUTE_PGM_RSRC2:TGID_X_EN: 1
; COMPUTE_PGM_RSRC2:TGID_Y_EN: 0
; COMPUTE_PGM_RSRC2:TGID_Z_EN: 0
; COMPUTE_PGM_RSRC2:TIDIG_COMP_CNT: 0
	.text
	.p2alignl 7, 3214868480
	.fill 96, 4, 3214868480
	.type	__hip_cuid_ce87860b158d5e38,@object ; @__hip_cuid_ce87860b158d5e38
	.section	.bss,"aw",@nobits
	.globl	__hip_cuid_ce87860b158d5e38
__hip_cuid_ce87860b158d5e38:
	.byte	0                               ; 0x0
	.size	__hip_cuid_ce87860b158d5e38, 1

	.ident	"AMD clang version 19.0.0git (https://github.com/RadeonOpenCompute/llvm-project roc-6.4.0 25133 c7fe45cf4b819c5991fe208aaa96edf142730f1d)"
	.section	".note.GNU-stack","",@progbits
	.addrsig
	.addrsig_sym __hip_cuid_ce87860b158d5e38
	.amdgpu_metadata
---
amdhsa.kernels:
  - .args:
      - .actual_access:  read_only
        .address_space:  global
        .offset:         0
        .size:           8
        .value_kind:     global_buffer
      - .offset:         8
        .size:           8
        .value_kind:     by_value
      - .actual_access:  read_only
        .address_space:  global
        .offset:         16
        .size:           8
        .value_kind:     global_buffer
      - .actual_access:  read_only
        .address_space:  global
        .offset:         24
        .size:           8
        .value_kind:     global_buffer
      - .actual_access:  read_only
        .address_space:  global
        .offset:         32
        .size:           8
        .value_kind:     global_buffer
      - .offset:         40
        .size:           8
        .value_kind:     by_value
      - .actual_access:  read_only
        .address_space:  global
        .offset:         48
        .size:           8
        .value_kind:     global_buffer
      - .actual_access:  read_only
        .address_space:  global
        .offset:         56
        .size:           8
        .value_kind:     global_buffer
      - .offset:         64
        .size:           4
        .value_kind:     by_value
      - .actual_access:  read_only
        .address_space:  global
        .offset:         72
        .size:           8
        .value_kind:     global_buffer
      - .actual_access:  read_only
        .address_space:  global
        .offset:         80
        .size:           8
        .value_kind:     global_buffer
      - .actual_access:  read_only
        .address_space:  global
        .offset:         88
        .size:           8
        .value_kind:     global_buffer
      - .actual_access:  write_only
        .address_space:  global
        .offset:         96
        .size:           8
        .value_kind:     global_buffer
    .group_segment_fixed_size: 0
    .kernarg_segment_align: 8
    .kernarg_segment_size: 104
    .language:       OpenCL C
    .language_version:
      - 2
      - 0
    .max_flat_workgroup_size: 231
    .name:           fft_rtc_back_len1078_factors_2_11_7_7_wgs_231_tpt_77_halfLds_dp_op_CI_CI_unitstride_sbrr_R2C_dirReg
    .private_segment_fixed_size: 0
    .sgpr_count:     42
    .sgpr_spill_count: 0
    .symbol:         fft_rtc_back_len1078_factors_2_11_7_7_wgs_231_tpt_77_halfLds_dp_op_CI_CI_unitstride_sbrr_R2C_dirReg.kd
    .uniform_work_group_size: 1
    .uses_dynamic_stack: false
    .vgpr_count:     224
    .vgpr_spill_count: 0
    .wavefront_size: 32
    .workgroup_processor_mode: 1
amdhsa.target:   amdgcn-amd-amdhsa--gfx1201
amdhsa.version:
  - 1
  - 2
...

	.end_amdgpu_metadata
